;; amdgpu-corpus repo=ROCm/rocFFT kind=compiled arch=gfx1201 opt=O3
	.text
	.amdgcn_target "amdgcn-amd-amdhsa--gfx1201"
	.amdhsa_code_object_version 6
	.protected	bluestein_single_back_len550_dim1_dp_op_CI_CI ; -- Begin function bluestein_single_back_len550_dim1_dp_op_CI_CI
	.globl	bluestein_single_back_len550_dim1_dp_op_CI_CI
	.p2align	8
	.type	bluestein_single_back_len550_dim1_dp_op_CI_CI,@function
bluestein_single_back_len550_dim1_dp_op_CI_CI: ; @bluestein_single_back_len550_dim1_dp_op_CI_CI
; %bb.0:
	s_load_b128 s[8:11], s[0:1], 0x28
	v_mul_u32_u24_e32 v1, 0x4a8, v0
	s_mov_b32 s2, exec_lo
	v_mov_b32_e32 v113, 0
	s_delay_alu instid0(VALU_DEP_2) | instskip(NEXT) | instid1(VALU_DEP_1)
	v_lshrrev_b32_e32 v1, 16, v1
	v_add_nc_u32_e32 v112, ttmp9, v1
	s_wait_kmcnt 0x0
	s_delay_alu instid0(VALU_DEP_1)
	v_cmpx_gt_u64_e64 s[8:9], v[112:113]
	s_cbranch_execz .LBB0_15
; %bb.1:
	s_clause 0x1
	s_load_b64 s[12:13], s[0:1], 0x0
	s_load_b64 s[8:9], s[0:1], 0x38
	v_mul_lo_u16 v1, v1, 55
	s_delay_alu instid0(VALU_DEP_1) | instskip(NEXT) | instid1(VALU_DEP_1)
	v_sub_nc_u16 v0, v0, v1
	v_and_b32_e32 v114, 0xffff, v0
	v_cmp_gt_u16_e32 vcc_lo, 50, v0
	s_delay_alu instid0(VALU_DEP_2)
	v_lshlrev_b32_e32 v113, 4, v114
	s_and_saveexec_b32 s3, vcc_lo
	s_cbranch_execz .LBB0_3
; %bb.2:
	s_load_b64 s[4:5], s[0:1], 0x18
	s_wait_kmcnt 0x0
	s_load_b128 s[4:7], s[4:5], 0x0
	s_wait_kmcnt 0x0
	v_mad_co_u64_u32 v[8:9], null, s4, v114, 0
	v_mad_co_u64_u32 v[0:1], null, s6, v112, 0
	s_delay_alu instid0(VALU_DEP_2) | instskip(NEXT) | instid1(VALU_DEP_1)
	v_mov_b32_e32 v2, v9
	v_mad_co_u64_u32 v[3:4], null, s7, v112, v[1:2]
	s_delay_alu instid0(VALU_DEP_1) | instskip(SKIP_2) | instid1(VALU_DEP_2)
	v_mov_b32_e32 v1, v3
	v_mad_co_u64_u32 v[4:5], null, s5, v114, v[2:3]
	s_mul_u64 s[4:5], s[4:5], 0x320
	v_lshlrev_b64_e32 v[10:11], 4, v[0:1]
	s_delay_alu instid0(VALU_DEP_2) | instskip(SKIP_4) | instid1(VALU_DEP_1)
	v_mov_b32_e32 v9, v4
	s_clause 0x1
	global_load_b128 v[0:3], v113, s[12:13]
	global_load_b128 v[4:7], v113, s[12:13] offset:800
	v_add_co_u32 v18, s2, s10, v10
	v_add_co_ci_u32_e64 v19, s2, s11, v11, s2
	v_lshlrev_b64_e32 v[16:17], 4, v[8:9]
	s_clause 0x1
	global_load_b128 v[8:11], v113, s[12:13] offset:1600
	global_load_b128 v[12:15], v113, s[12:13] offset:2400
	v_add_co_u32 v32, s2, v18, v16
	s_wait_alu 0xf1ff
	v_add_co_ci_u32_e64 v33, s2, v19, v17, s2
	s_clause 0x1
	global_load_b128 v[16:19], v113, s[12:13] offset:3200
	global_load_b128 v[20:23], v113, s[12:13] offset:4000
	s_wait_alu 0xfffe
	v_add_co_u32 v36, s2, v32, s4
	s_wait_alu 0xf1ff
	v_add_co_ci_u32_e64 v37, s2, s5, v33, s2
	s_clause 0x1
	global_load_b128 v[24:27], v113, s[12:13] offset:4800
	global_load_b128 v[28:31], v113, s[12:13] offset:5600
	v_add_co_u32 v40, s2, v36, s4
	s_wait_alu 0xf1ff
	v_add_co_ci_u32_e64 v41, s2, s5, v37, s2
	s_clause 0x1
	global_load_b128 v[32:35], v[32:33], off
	global_load_b128 v[36:39], v[36:37], off
	v_add_co_u32 v44, s2, v40, s4
	s_wait_alu 0xf1ff
	v_add_co_ci_u32_e64 v45, s2, s5, v41, s2
	s_delay_alu instid0(VALU_DEP_2) | instskip(SKIP_1) | instid1(VALU_DEP_2)
	v_add_co_u32 v48, s2, v44, s4
	s_wait_alu 0xf1ff
	v_add_co_ci_u32_e64 v49, s2, s5, v45, s2
	s_clause 0x1
	global_load_b128 v[40:43], v[40:41], off
	global_load_b128 v[44:47], v[44:45], off
	v_add_co_u32 v52, s2, v48, s4
	s_wait_alu 0xf1ff
	v_add_co_ci_u32_e64 v53, s2, s5, v49, s2
	global_load_b128 v[48:51], v[48:49], off
	v_add_co_u32 v56, s2, v52, s4
	s_wait_alu 0xf1ff
	v_add_co_ci_u32_e64 v57, s2, s5, v53, s2
	;; [unrolled: 4-line block ×6, first 2 shown]
	s_clause 0x1
	global_load_b128 v[68:71], v113, s[12:13] offset:6400
	global_load_b128 v[72:75], v113, s[12:13] offset:7200
	global_load_b128 v[76:79], v[76:77], off
	global_load_b128 v[80:83], v113, s[12:13] offset:8000
	global_load_b128 v[84:87], v[84:85], off
	s_wait_loadcnt 0xd
	v_mul_f64_e32 v[88:89], v[34:35], v[2:3]
	v_mul_f64_e32 v[2:3], v[32:33], v[2:3]
	s_wait_loadcnt 0xc
	v_mul_f64_e32 v[90:91], v[38:39], v[6:7]
	v_mul_f64_e32 v[6:7], v[36:37], v[6:7]
	;; [unrolled: 3-line block ×11, first 2 shown]
	v_fma_f64 v[30:31], v[32:33], v[0:1], v[88:89]
	v_fma_f64 v[32:33], v[34:35], v[0:1], -v[2:3]
	v_fma_f64 v[0:1], v[36:37], v[4:5], v[90:91]
	v_fma_f64 v[2:3], v[38:39], v[4:5], -v[6:7]
	;; [unrolled: 2-line block ×11, first 2 shown]
	ds_store_b128 v113, v[30:33]
	ds_store_b128 v113, v[0:3] offset:800
	ds_store_b128 v113, v[4:7] offset:1600
	;; [unrolled: 1-line block ×10, first 2 shown]
.LBB0_3:
	s_or_b32 exec_lo, exec_lo, s3
	s_clause 0x1
	s_load_b64 s[2:3], s[0:1], 0x20
	s_load_b64 s[4:5], s[0:1], 0x8
	global_wb scope:SCOPE_SE
	s_wait_dscnt 0x0
	s_wait_kmcnt 0x0
	s_barrier_signal -1
	s_barrier_wait -1
	global_inv scope:SCOPE_SE
                                        ; implicit-def: $vgpr8_vgpr9
                                        ; implicit-def: $vgpr36_vgpr37
                                        ; implicit-def: $vgpr40_vgpr41
                                        ; implicit-def: $vgpr44_vgpr45
                                        ; implicit-def: $vgpr32_vgpr33
                                        ; implicit-def: $vgpr28_vgpr29
                                        ; implicit-def: $vgpr24_vgpr25
                                        ; implicit-def: $vgpr20_vgpr21
                                        ; implicit-def: $vgpr16_vgpr17
                                        ; implicit-def: $vgpr12_vgpr13
                                        ; implicit-def: $vgpr4_vgpr5
	s_and_saveexec_b32 s0, vcc_lo
	s_cbranch_execz .LBB0_5
; %bb.4:
	ds_load_b128 v[8:11], v113
	ds_load_b128 v[36:39], v113 offset:800
	ds_load_b128 v[40:43], v113 offset:1600
	ds_load_b128 v[44:47], v113 offset:2400
	ds_load_b128 v[32:35], v113 offset:3200
	ds_load_b128 v[28:31], v113 offset:4000
	ds_load_b128 v[24:27], v113 offset:4800
	ds_load_b128 v[20:23], v113 offset:5600
	ds_load_b128 v[16:19], v113 offset:6400
	ds_load_b128 v[12:15], v113 offset:7200
	ds_load_b128 v[4:7], v113 offset:8000
.LBB0_5:
	s_wait_alu 0xfffe
	s_or_b32 exec_lo, exec_lo, s0
	s_wait_dscnt 0x0
	v_add_f64_e64 v[88:89], v[38:39], -v[6:7]
	v_add_f64_e64 v[66:67], v[36:37], -v[4:5]
	s_mov_b32 s0, 0xf8bb580b
	s_mov_b32 s1, 0xbfe14ced
	v_add_f64_e32 v[64:65], v[36:37], v[4:5]
	v_add_f64_e32 v[92:93], v[38:39], v[6:7]
	v_add_f64_e64 v[90:91], v[42:43], -v[14:15]
	v_add_f64_e64 v[70:71], v[40:41], -v[12:13]
	s_mov_b32 s6, 0x8764f0ba
	s_mov_b32 s10, 0x8eee2c13
	s_mov_b32 s7, 0x3feaeb8c
	s_mov_b32 s11, 0xbfed1bb4
	v_add_f64_e32 v[68:69], v[40:41], v[12:13]
	v_add_f64_e32 v[94:95], v[42:43], v[14:15]
	v_add_f64_e64 v[96:97], v[46:47], -v[18:19]
	v_add_f64_e64 v[60:61], v[44:45], -v[16:17]
	s_mov_b32 s14, 0xd9c712b6
	s_mov_b32 s16, 0x43842ef
	;; [unrolled: 8-line block ×4, first 2 shown]
	s_mov_b32 s23, 0xbfe4f49e
	s_mov_b32 s25, 0xbfd207e7
	v_add_f64_e32 v[106:107], v[30:31], v[26:27]
	s_mov_b32 s26, 0x9bcd5057
	s_wait_alu 0xfffe
	v_mul_f64_e32 v[76:77], s[0:1], v[88:89]
	v_mul_f64_e32 v[82:83], s[0:1], v[66:67]
	s_mov_b32 s27, 0xbfeeb42a
	global_wb scope:SCOPE_SE
	s_barrier_signal -1
	s_barrier_wait -1
	v_mul_f64_e32 v[84:85], s[10:11], v[90:91]
	v_mul_f64_e32 v[86:87], s[10:11], v[70:71]
	global_inv scope:SCOPE_SE
	v_mul_f64_e32 v[78:79], s[16:17], v[96:97]
	v_mul_f64_e32 v[80:81], s[16:17], v[60:61]
	;; [unrolled: 1-line block ×5, first 2 shown]
	v_fma_f64 v[0:1], v[64:65], s[6:7], v[76:77]
	v_fma_f64 v[2:3], v[92:93], s[6:7], -v[82:83]
	v_fma_f64 v[50:51], v[68:69], s[14:15], v[84:85]
	v_fma_f64 v[56:57], v[94:95], s[14:15], -v[86:87]
	;; [unrolled: 2-line block ×3, first 2 shown]
	v_fma_f64 v[117:118], v[102:103], s[22:23], -v[74:75]
	v_fma_f64 v[115:116], v[54:55], s[22:23], v[72:73]
	v_add_f64_e32 v[0:1], v[8:9], v[0:1]
	v_add_f64_e32 v[2:3], v[10:11], v[2:3]
	s_delay_alu instid0(VALU_DEP_2) | instskip(NEXT) | instid1(VALU_DEP_2)
	v_add_f64_e32 v[0:1], v[50:51], v[0:1]
	v_add_f64_e32 v[2:3], v[56:57], v[2:3]
	v_add_f64_e32 v[50:51], v[28:29], v[24:25]
	v_mul_f64_e32 v[56:57], s[24:25], v[104:105]
	s_delay_alu instid0(VALU_DEP_4) | instskip(NEXT) | instid1(VALU_DEP_4)
	v_add_f64_e32 v[0:1], v[108:109], v[0:1]
	v_add_f64_e32 v[2:3], v[110:111], v[2:3]
	v_fma_f64 v[110:111], v[106:107], s[26:27], -v[62:63]
	s_delay_alu instid0(VALU_DEP_4) | instskip(NEXT) | instid1(VALU_DEP_4)
	v_fma_f64 v[108:109], v[50:51], s[26:27], v[56:57]
	v_add_f64_e32 v[0:1], v[115:116], v[0:1]
	s_delay_alu instid0(VALU_DEP_4) | instskip(SKIP_1) | instid1(VALU_DEP_3)
	v_add_f64_e32 v[2:3], v[117:118], v[2:3]
	v_mul_lo_u16 v115, v114, 11
	v_add_f64_e32 v[0:1], v[108:109], v[0:1]
	s_delay_alu instid0(VALU_DEP_3)
	v_add_f64_e32 v[2:3], v[110:111], v[2:3]
	s_and_saveexec_b32 s33, vcc_lo
	s_cbranch_execz .LBB0_7
; %bb.6:
	v_add_f64_e32 v[38:39], v[10:11], v[38:39]
	v_add_f64_e32 v[36:37], v[8:9], v[36:37]
	v_mul_f64_e32 v[132:133], s[26:27], v[92:93]
	v_mul_f64_e32 v[138:139], s[24:25], v[88:89]
	;; [unrolled: 1-line block ×7, first 2 shown]
	s_mov_b32 s31, 0x3fefac9e
	s_mov_b32 s30, s16
	;; [unrolled: 1-line block ×8, first 2 shown]
	v_mul_f64_e32 v[108:109], s[14:15], v[68:69]
	v_mul_f64_e32 v[110:111], s[14:15], v[94:95]
	;; [unrolled: 1-line block ×10, first 2 shown]
	s_mov_b32 s37, 0x3fed1bb4
	s_mov_b32 s36, s10
	v_mul_f64_e32 v[116:117], s[20:21], v[58:59]
	v_mul_f64_e32 v[128:129], s[22:23], v[98:99]
	;; [unrolled: 1-line block ×9, first 2 shown]
	v_add_f64_e32 v[38:39], v[38:39], v[42:43]
	v_add_f64_e32 v[36:37], v[36:37], v[40:41]
	v_mul_f64_e32 v[42:43], s[6:7], v[92:93]
	v_mul_f64_e32 v[92:93], s[14:15], v[92:93]
	;; [unrolled: 1-line block ×3, first 2 shown]
	v_fma_f64 v[180:181], v[66:67], s[38:39], v[132:133]
	v_fma_f64 v[182:183], v[64:65], s[26:27], v[138:139]
	v_fma_f64 v[138:139], v[64:65], s[26:27], -v[138:139]
	v_fma_f64 v[184:185], v[66:67], s[28:29], v[140:141]
	v_fma_f64 v[186:187], v[64:65], s[22:23], v[142:143]
	;; [unrolled: 1-line block ×3, first 2 shown]
	v_fma_f64 v[192:193], v[64:65], s[14:15], -v[150:151]
	v_fma_f64 v[132:133], v[66:67], s[24:25], v[132:133]
	v_fma_f64 v[194:195], v[64:65], s[20:21], -v[88:89]
	v_fma_f64 v[140:141], v[66:67], s[18:19], v[140:141]
	;; [unrolled: 2-line block ×3, first 2 shown]
	v_fma_f64 v[88:89], v[64:65], s[20:21], v[88:89]
	v_fma_f64 v[64:65], v[64:65], s[14:15], v[150:151]
	v_add_f64_e32 v[86:87], v[86:87], v[110:111]
	v_add_f64_e64 v[84:85], v[108:109], -v[84:85]
	v_mul_f64_e32 v[146:147], s[26:27], v[102:103]
	v_fma_f64 v[150:151], v[70:71], s[28:29], v[94:95]
	v_mul_f64_e32 v[156:157], s[24:25], v[100:101]
	v_fma_f64 v[108:109], v[68:69], s[6:7], v[172:173]
	v_fma_f64 v[110:111], v[68:69], s[6:7], -v[172:173]
	v_fma_f64 v[172:173], v[68:69], s[26:27], v[90:91]
	v_mul_f64_e32 v[166:167], s[0:1], v[100:101]
	v_mul_f64_e32 v[170:171], s[36:37], v[100:101]
	;; [unrolled: 1-line block ×3, first 2 shown]
	v_add_f64_e64 v[78:79], v[116:117], -v[78:79]
	v_mul_f64_e32 v[122:123], s[26:27], v[106:107]
	v_mul_f64_e32 v[124:125], s[20:21], v[106:107]
	v_mul_f64_e32 v[134:135], s[16:17], v[104:105]
	v_mul_f64_e32 v[144:145], s[14:15], v[106:107]
	v_fma_f64 v[116:117], v[58:59], s[26:27], v[96:97]
	v_mul_f64_e32 v[160:161], s[22:23], v[106:107]
	v_mul_f64_e32 v[164:165], s[18:19], v[104:105]
	v_add_f64_e32 v[38:39], v[38:39], v[46:47]
	v_add_f64_e32 v[36:37], v[36:37], v[44:45]
	;; [unrolled: 1-line block ×3, first 2 shown]
	v_fma_f64 v[190:191], v[66:67], s[10:11], v[92:93]
	v_fma_f64 v[66:67], v[66:67], s[36:37], v[92:93]
	v_mul_f64_e32 v[44:45], s[20:21], v[98:99]
	v_fma_f64 v[82:83], v[70:71], s[30:31], v[154:155]
	v_fma_f64 v[92:93], v[70:71], s[24:25], v[162:163]
	v_add_f64_e32 v[138:139], v[8:9], v[138:139]
	v_mul_f64_e32 v[46:47], s[22:23], v[54:55]
	v_mul_f64_e32 v[106:107], s[6:7], v[106:107]
	;; [unrolled: 1-line block ×3, first 2 shown]
	v_add_f64_e32 v[132:133], v[10:11], v[132:133]
	v_mul_f64_e32 v[104:105], s[34:35], v[104:105]
	v_add_f64_e32 v[140:141], v[10:11], v[140:141]
	v_add_f64_e32 v[142:143], v[8:9], v[142:143]
	;; [unrolled: 1-line block ×6, first 2 shown]
	v_mul_f64_e32 v[120:121], s[26:27], v[50:51]
	v_fma_f64 v[118:119], v[54:55], s[20:21], v[100:101]
	v_add_f64_e32 v[62:63], v[62:63], v[122:123]
	v_add_f64_e32 v[34:35], v[38:39], v[34:35]
	;; [unrolled: 1-line block ×3, first 2 shown]
	v_mul_f64_e32 v[38:39], s[14:15], v[98:99]
	v_mul_f64_e32 v[98:99], s[26:27], v[98:99]
	v_add_f64_e32 v[66:67], v[10:11], v[66:67]
	v_mul_f64_e32 v[36:37], s[6:7], v[102:103]
	v_mul_f64_e32 v[102:103], s[20:21], v[102:103]
	v_add_f64_e32 v[44:45], v[80:81], v[44:45]
	v_fma_f64 v[80:81], v[58:59], s[14:15], v[178:179]
	v_add_f64_e64 v[46:47], v[46:47], -v[72:73]
	v_fma_f64 v[72:73], v[54:55], s[14:15], v[170:171]
	v_add_f64_e32 v[82:83], v[82:83], v[140:141]
	v_fma_f64 v[140:141], v[54:55], s[6:7], v[166:167]
	v_add_f64_e32 v[92:93], v[92:93], v[148:149]
	v_add_f64_e32 v[88:89], v[172:173], v[88:89]
	v_add_f64_e64 v[56:57], v[120:121], -v[56:57]
	v_add_f64_e32 v[30:31], v[34:35], v[30:31]
	v_add_f64_e32 v[28:29], v[32:33], v[28:29]
	v_add_f64_e64 v[32:33], v[40:41], -v[76:77]
	v_fma_f64 v[34:35], v[70:71], s[0:1], v[130:131]
	v_fma_f64 v[40:41], v[70:71], s[34:35], v[130:131]
	;; [unrolled: 1-line block ×6, first 2 shown]
	v_fma_f64 v[94:95], v[68:69], s[22:23], -v[168:169]
	v_fma_f64 v[162:163], v[68:69], s[20:21], v[176:177]
	v_fma_f64 v[168:169], v[68:69], s[20:21], -v[176:177]
	v_fma_f64 v[68:69], v[68:69], s[26:27], -v[90:91]
	v_add_f64_e32 v[90:91], v[10:11], v[180:181]
	v_add_f64_e32 v[176:177], v[8:9], v[182:183]
	;; [unrolled: 1-line block ×9, first 2 shown]
	v_fma_f64 v[42:43], v[58:59], s[22:23], -v[136:137]
	v_fma_f64 v[192:193], v[60:61], s[10:11], v[38:39]
	v_fma_f64 v[38:39], v[60:61], s[36:37], v[38:39]
	;; [unrolled: 1-line block ×3, first 2 shown]
	v_add_f64_e32 v[66:67], v[150:151], v[66:67]
	v_add_f64_e32 v[80:81], v[80:81], v[88:89]
	v_fma_f64 v[88:89], v[48:49], s[10:11], v[144:145]
	v_add_f64_e32 v[26:27], v[30:31], v[26:27]
	v_add_f64_e32 v[24:25], v[28:29], v[24:25]
	;; [unrolled: 1-line block ×3, first 2 shown]
	v_fma_f64 v[28:29], v[60:61], s[28:29], v[128:129]
	v_fma_f64 v[30:31], v[58:59], s[22:23], v[136:137]
	;; [unrolled: 1-line block ×6, first 2 shown]
	v_fma_f64 v[158:159], v[58:59], s[6:7], -v[158:159]
	v_fma_f64 v[60:61], v[60:61], s[38:39], v[98:99]
	v_fma_f64 v[98:99], v[58:59], s[14:15], -v[178:179]
	v_fma_f64 v[58:59], v[58:59], s[26:27], -v[96:97]
	v_add_f64_e32 v[34:35], v[34:35], v[90:91]
	v_add_f64_e32 v[90:91], v[108:109], v[176:177]
	;; [unrolled: 1-line block ×13, first 2 shown]
	v_fma_f64 v[86:87], v[54:55], s[26:27], v[156:157]
	v_fma_f64 v[132:133], v[54:55], s[26:27], -v[156:157]
	v_fma_f64 v[138:139], v[52:53], s[34:35], v[36:37]
	v_fma_f64 v[36:37], v[52:53], s[0:1], v[36:37]
	v_fma_f64 v[142:143], v[54:55], s[6:7], -v[166:167]
	v_add_f64_e32 v[66:67], v[194:195], v[66:67]
	v_add_f64_e32 v[22:23], v[26:27], v[22:23]
	;; [unrolled: 1-line block ×4, first 2 shown]
	v_fma_f64 v[24:25], v[52:53], s[10:11], v[126:127]
	v_fma_f64 v[26:27], v[52:53], s[36:37], v[126:127]
	;; [unrolled: 1-line block ×6, first 2 shown]
	v_fma_f64 v[102:103], v[54:55], s[14:15], -v[170:171]
	v_fma_f64 v[54:55], v[54:55], s[20:21], -v[100:101]
	v_fma_f64 v[100:101], v[48:49], s[0:1], v[106:107]
	v_add_f64_e32 v[28:29], v[28:29], v[34:35]
	v_add_f64_e32 v[30:31], v[30:31], v[90:91]
	;; [unrolled: 1-line block ×15, first 2 shown]
	v_fma_f64 v[44:45], v[48:49], s[16:17], v[124:125]
	v_fma_f64 v[90:91], v[48:49], s[36:37], v[144:145]
	;; [unrolled: 1-line block ×5, first 2 shown]
	v_fma_f64 v[98:99], v[50:51], s[22:23], -v[164:165]
	v_fma_f64 v[108:109], v[50:51], s[14:15], -v[174:175]
	v_fma_f64 v[110:111], v[50:51], s[6:7], v[104:105]
	v_add_f64_e32 v[18:19], v[22:23], v[18:19]
	v_add_f64_e32 v[16:17], v[20:21], v[16:17]
	;; [unrolled: 1-line block ×3, first 2 shown]
	v_fma_f64 v[20:21], v[48:49], s[30:31], v[124:125]
	v_fma_f64 v[22:23], v[50:51], s[20:21], v[134:135]
	v_fma_f64 v[78:79], v[50:51], s[20:21], -v[134:135]
	v_fma_f64 v[48:49], v[48:49], s[34:35], v[106:107]
	v_fma_f64 v[106:107], v[50:51], s[14:15], v[174:175]
	v_fma_f64 v[50:51], v[50:51], s[6:7], -v[104:105]
	v_add_f64_e32 v[66:67], v[146:147], v[66:67]
	v_add_f64_e32 v[24:25], v[24:25], v[28:29]
	;; [unrolled: 1-line block ×37, first 2 shown]
	v_and_b32_e32 v44, 0xffff, v115
	s_delay_alu instid0(VALU_DEP_1)
	v_lshlrev_b32_e32 v44, 4, v44
	v_add_f64_e32 v[6:7], v[70:71], v[6:7]
	v_add_f64_e32 v[4:5], v[72:73], v[4:5]
	;; [unrolled: 1-line block ×3, first 2 shown]
	ds_store_b128 v44, v[28:31] offset:32
	ds_store_b128 v44, v[24:27] offset:48
	;; [unrolled: 1-line block ×8, first 2 shown]
	ds_store_b128 v44, v[4:7]
	ds_store_b128 v44, v[40:43] offset:16
	ds_store_b128 v44, v[0:3] offset:160
.LBB0_7:
	s_or_b32 exec_lo, exec_lo, s33
	v_and_b32_e32 v4, 0xff, v114
	s_load_b128 s[0:3], s[2:3], 0x0
	global_wb scope:SCOPE_SE
	s_wait_dscnt 0x0
	s_wait_kmcnt 0x0
	s_barrier_signal -1
	s_barrier_wait -1
	v_mul_lo_u16 v4, 0x75, v4
	global_inv scope:SCOPE_SE
	s_mov_b32 s10, 0x134454ff
	s_mov_b32 s11, 0x3fee6f0e
	;; [unrolled: 1-line block ×3, first 2 shown]
	v_lshrrev_b16 v4, 8, v4
	s_wait_alu 0xfffe
	s_mov_b32 s16, s10
	s_mov_b32 s6, 0x4755a5e
	;; [unrolled: 1-line block ×4, first 2 shown]
	v_sub_nc_u16 v5, v114, v4
	s_wait_alu 0xfffe
	s_mov_b32 s14, s6
	s_mov_b32 s18, 0x372fe950
	;; [unrolled: 1-line block ×4, first 2 shown]
	v_lshrrev_b16 v5, 1, v5
	s_mov_b32 s21, 0x3fe9e377
	s_delay_alu instid0(VALU_DEP_1) | instskip(NEXT) | instid1(VALU_DEP_1)
	v_and_b32_e32 v5, 0x7f, v5
	v_add_nc_u16 v4, v5, v4
	s_delay_alu instid0(VALU_DEP_1) | instskip(NEXT) | instid1(VALU_DEP_1)
	v_lshrrev_b16 v40, 3, v4
	v_mul_lo_u16 v4, v40, 11
	v_and_b32_e32 v40, 0xffff, v40
	s_delay_alu instid0(VALU_DEP_2) | instskip(NEXT) | instid1(VALU_DEP_2)
	v_sub_nc_u16 v4, v114, v4
	v_mul_u32_u24_e32 v40, 0x6e, v40
	s_delay_alu instid0(VALU_DEP_2) | instskip(NEXT) | instid1(VALU_DEP_1)
	v_and_b32_e32 v41, 0xff, v4
	v_mad_co_u64_u32 v[8:9], null, 0x90, v41, s[4:5]
	s_clause 0x8
	global_load_b128 v[24:27], v[8:9], off offset:32
	global_load_b128 v[32:35], v[8:9], off offset:64
	;; [unrolled: 1-line block ×4, first 2 shown]
	global_load_b128 v[4:7], v[8:9], off
	global_load_b128 v[20:23], v[8:9], off offset:16
	global_load_b128 v[16:19], v[8:9], off offset:48
	;; [unrolled: 1-line block ×4, first 2 shown]
	ds_load_b128 v[42:45], v113 offset:2640
	ds_load_b128 v[46:49], v113 offset:4400
	;; [unrolled: 1-line block ×6, first 2 shown]
	s_wait_loadcnt_dscnt 0x805
	v_mul_f64_e32 v[68:69], v[42:43], v[26:27]
	s_wait_loadcnt_dscnt 0x704
	v_mul_f64_e32 v[70:71], v[48:49], v[34:35]
	v_mul_f64_e32 v[72:73], v[46:47], v[34:35]
	s_wait_loadcnt_dscnt 0x603
	v_mul_f64_e32 v[74:75], v[50:51], v[30:31]
	s_wait_loadcnt_dscnt 0x502
	v_mul_f64_e32 v[76:77], v[54:55], v[38:39]
	v_mul_f64_e32 v[80:81], v[52:53], v[30:31]
	;; [unrolled: 1-line block ×4, first 2 shown]
	s_wait_loadcnt_dscnt 0x401
	v_mul_f64_e32 v[82:83], v[60:61], v[6:7]
	v_mul_f64_e32 v[84:85], v[58:59], v[6:7]
	v_fma_f64 v[68:69], v[44:45], v[24:25], v[68:69]
	v_fma_f64 v[70:71], v[46:47], v[32:33], -v[70:71]
	v_fma_f64 v[72:73], v[48:49], v[32:33], v[72:73]
	v_fma_f64 v[74:75], v[52:53], v[28:29], v[74:75]
	v_fma_f64 v[56:57], v[56:57], v[36:37], v[76:77]
	v_fma_f64 v[76:77], v[50:51], v[28:29], -v[80:81]
	v_fma_f64 v[66:67], v[42:43], v[24:25], -v[66:67]
	;; [unrolled: 1-line block ×3, first 2 shown]
	ds_load_b128 v[42:45], v113 offset:3520
	ds_load_b128 v[46:49], v113 offset:5280
	;; [unrolled: 1-line block ×3, first 2 shown]
	s_wait_loadcnt_dscnt 0x303
	v_mul_f64_e32 v[78:79], v[64:65], v[22:23]
	v_mul_f64_e32 v[80:81], v[62:63], v[22:23]
	v_fma_f64 v[58:59], v[58:59], v[4:5], -v[82:83]
	v_fma_f64 v[60:61], v[60:61], v[4:5], v[84:85]
	s_wait_loadcnt_dscnt 0x202
	v_mul_f64_e32 v[86:87], v[44:45], v[18:19]
	v_mul_f64_e32 v[88:89], v[42:43], v[18:19]
	s_wait_loadcnt_dscnt 0x101
	v_mul_f64_e32 v[90:91], v[48:49], v[14:15]
	s_wait_loadcnt_dscnt 0x0
	v_mul_f64_e32 v[92:93], v[52:53], v[10:11]
	v_mul_f64_e32 v[94:95], v[46:47], v[14:15]
	;; [unrolled: 1-line block ×3, first 2 shown]
	v_add_f64_e64 v[118:119], v[68:69], -v[72:73]
	v_add_f64_e32 v[82:83], v[72:73], v[74:75]
	v_add_f64_e32 v[84:85], v[68:69], v[56:57]
	;; [unrolled: 1-line block ×3, first 2 shown]
	v_add_f64_e64 v[106:107], v[66:67], -v[70:71]
	v_add_f64_e32 v[98:99], v[66:67], v[54:55]
	v_add_f64_e64 v[108:109], v[54:55], -v[76:77]
	v_fma_f64 v[62:63], v[62:63], v[20:21], -v[78:79]
	v_fma_f64 v[64:65], v[64:65], v[20:21], v[80:81]
	v_add_f64_e64 v[110:111], v[70:71], -v[66:67]
	v_add_f64_e64 v[116:117], v[76:77], -v[54:55]
	v_add_f64_e64 v[120:121], v[56:57], -v[74:75]
	v_add_f64_e64 v[122:123], v[72:73], -v[68:69]
	v_add_f64_e64 v[124:125], v[74:75], -v[56:57]
	v_fma_f64 v[78:79], v[42:43], v[16:17], -v[86:87]
	v_fma_f64 v[80:81], v[44:45], v[16:17], v[88:89]
	v_fma_f64 v[46:47], v[46:47], v[12:13], -v[90:91]
	v_fma_f64 v[50:51], v[50:51], v[8:9], -v[92:93]
	v_fma_f64 v[48:49], v[48:49], v[12:13], v[94:95]
	v_fma_f64 v[52:53], v[52:53], v[8:9], v[96:97]
	v_add_f64_e64 v[86:87], v[68:69], -v[56:57]
	v_add_f64_e64 v[90:91], v[66:67], -v[54:55]
	;; [unrolled: 1-line block ×4, first 2 shown]
	ds_load_b128 v[42:45], v113
	global_wb scope:SCOPE_SE
	s_wait_dscnt 0x0
	s_barrier_signal -1
	s_barrier_wait -1
	global_inv scope:SCOPE_SE
	v_fma_f64 v[82:83], v[82:83], -0.5, v[60:61]
	v_fma_f64 v[84:85], v[84:85], -0.5, v[60:61]
	;; [unrolled: 1-line block ×3, first 2 shown]
	v_add_f64_e32 v[60:61], v[60:61], v[68:69]
	v_fma_f64 v[94:95], v[98:99], -0.5, v[58:59]
	v_add_f64_e32 v[58:59], v[58:59], v[66:67]
	v_add_f64_e32 v[134:135], v[42:43], v[62:63]
	;; [unrolled: 1-line block ×7, first 2 shown]
	v_add_f64_e64 v[136:137], v[64:65], -v[52:53]
	v_add_f64_e64 v[142:143], v[62:63], -v[50:51]
	;; [unrolled: 1-line block ×4, first 2 shown]
	v_fma_f64 v[126:127], v[90:91], s[16:17], v[82:83]
	v_fma_f64 v[128:129], v[92:93], s[10:11], v[84:85]
	;; [unrolled: 1-line block ×8, first 2 shown]
	v_add_f64_e32 v[58:59], v[58:59], v[70:71]
	v_add_f64_e32 v[60:61], v[60:61], v[72:73]
	v_fma_f64 v[66:67], v[98:99], -0.5, v[42:43]
	v_fma_f64 v[42:43], v[100:101], -0.5, v[42:43]
	;; [unrolled: 1-line block ×4, first 2 shown]
	v_add_f64_e32 v[98:99], v[106:107], v[108:109]
	v_add_f64_e32 v[100:101], v[110:111], v[116:117]
	;; [unrolled: 1-line block ×4, first 2 shown]
	v_add_f64_e64 v[118:119], v[52:53], -v[48:49]
	v_add_f64_e64 v[120:121], v[48:49], -v[52:53]
	s_wait_alu 0xfffe
	v_fma_f64 v[106:107], v[92:93], s[14:15], v[126:127]
	v_fma_f64 v[108:109], v[90:91], s[14:15], v[128:129]
	;; [unrolled: 1-line block ×8, first 2 shown]
	v_add_f64_e64 v[90:91], v[62:63], -v[78:79]
	v_add_f64_e64 v[62:63], v[78:79], -v[62:63]
	;; [unrolled: 1-line block ×4, first 2 shown]
	v_add_f64_e32 v[78:79], v[134:135], v[78:79]
	v_add_f64_e32 v[80:81], v[140:141], v[80:81]
	v_add_f64_e64 v[92:93], v[50:51], -v[46:47]
	v_add_f64_e64 v[94:95], v[46:47], -v[50:51]
	v_add_f64_e32 v[58:59], v[58:59], v[76:77]
	v_add_f64_e32 v[60:61], v[60:61], v[74:75]
	v_fma_f64 v[70:71], v[136:137], s[10:11], v[66:67]
	v_fma_f64 v[66:67], v[136:137], s[16:17], v[66:67]
	;; [unrolled: 1-line block ×16, first 2 shown]
	v_add_f64_e32 v[64:65], v[64:65], v[120:121]
	v_add_f64_e32 v[46:47], v[78:79], v[46:47]
	;; [unrolled: 1-line block ×6, first 2 shown]
	v_fma_f64 v[70:71], v[138:139], s[6:7], v[70:71]
	v_fma_f64 v[66:67], v[138:139], s[14:15], v[66:67]
	;; [unrolled: 1-line block ×8, first 2 shown]
	v_mul_f64_e32 v[78:79], s[6:7], v[106:107]
	v_mul_f64_e32 v[80:81], s[10:11], v[108:109]
	;; [unrolled: 1-line block ×8, first 2 shown]
	v_add_f64_e32 v[46:47], v[46:47], v[50:51]
	v_add_f64_e32 v[48:49], v[48:49], v[52:53]
	;; [unrolled: 1-line block ×4, first 2 shown]
	v_fma_f64 v[70:71], v[90:91], s[18:19], v[70:71]
	v_fma_f64 v[90:91], v[90:91], s[18:19], v[66:67]
	;; [unrolled: 1-line block ×10, first 2 shown]
	v_fma_f64 v[78:79], v[82:83], s[6:7], -v[96:97]
	v_fma_f64 v[80:81], v[106:107], s[20:21], v[98:99]
	v_fma_f64 v[74:75], v[84:85], s[10:11], -v[94:95]
	v_fma_f64 v[82:83], v[108:109], s[18:19], v[100:101]
	v_fma_f64 v[84:85], v[110:111], s[16:17], -v[102:103]
	v_fma_f64 v[86:87], v[116:117], s[14:15], -v[104:105]
	v_add_lshl_u32 v116, v40, v41, 4
	v_add_f64_e32 v[42:43], v[46:47], v[50:51]
	v_add_f64_e32 v[44:45], v[48:49], v[52:53]
	v_add_f64_e64 v[46:47], v[46:47], -v[50:51]
	v_add_f64_e64 v[48:49], v[48:49], -v[52:53]
	v_add_f64_e32 v[50:51], v[70:71], v[66:67]
	v_add_f64_e32 v[54:55], v[72:73], v[68:69]
	;; [unrolled: 1-line block ×8, first 2 shown]
	v_add_f64_e64 v[66:67], v[70:71], -v[66:67]
	v_add_f64_e64 v[70:71], v[72:73], -v[68:69]
	;; [unrolled: 1-line block ×8, first 2 shown]
	v_lshlrev_b32_e32 v82, 6, v114
	ds_store_b128 v116, v[42:45]
	ds_store_b128 v116, v[50:53] offset:176
	ds_store_b128 v116, v[54:57] offset:352
	;; [unrolled: 1-line block ×9, first 2 shown]
	v_add_nc_u32_e32 v60, 0xdc0, v82
	global_wb scope:SCOPE_SE
	s_wait_dscnt 0x0
	s_barrier_signal -1
	s_barrier_wait -1
	global_inv scope:SCOPE_SE
	s_clause 0x7
	global_load_b128 v[44:47], v82, s[4:5] offset:1584
	global_load_b128 v[40:43], v82, s[4:5] offset:1600
	;; [unrolled: 1-line block ×8, first 2 shown]
	ds_load_b128 v[72:75], v113 offset:1760
	ds_load_b128 v[76:79], v113 offset:3520
	;; [unrolled: 1-line block ×8, first 2 shown]
	s_wait_loadcnt_dscnt 0x505
	v_mul_f64_e32 v[117:118], v[82:83], v[54:55]
	v_mul_f64_e32 v[119:120], v[80:81], v[54:55]
	s_wait_loadcnt_dscnt 0x404
	v_mul_f64_e32 v[121:122], v[86:87], v[50:51]
	v_mul_f64_e32 v[104:105], v[74:75], v[46:47]
	;; [unrolled: 1-line block ×6, first 2 shown]
	s_wait_loadcnt_dscnt 0x303
	v_mul_f64_e32 v[125:126], v[90:91], v[58:59]
	s_wait_loadcnt_dscnt 0x202
	v_mul_f64_e32 v[127:128], v[94:95], v[70:71]
	v_mul_f64_e32 v[129:130], v[92:93], v[70:71]
	s_wait_loadcnt_dscnt 0x101
	v_mul_f64_e32 v[131:132], v[98:99], v[66:67]
	s_wait_loadcnt_dscnt 0x0
	v_mul_f64_e32 v[133:134], v[102:103], v[62:63]
	v_mul_f64_e32 v[135:136], v[96:97], v[66:67]
	;; [unrolled: 1-line block ×4, first 2 shown]
	v_fma_f64 v[80:81], v[80:81], v[52:53], -v[117:118]
	v_fma_f64 v[82:83], v[82:83], v[52:53], v[119:120]
	v_fma_f64 v[84:85], v[84:85], v[48:49], -v[121:122]
	v_fma_f64 v[104:105], v[72:73], v[44:45], -v[104:105]
	v_fma_f64 v[106:107], v[74:75], v[44:45], v[106:107]
	v_fma_f64 v[108:109], v[76:77], v[40:41], -v[108:109]
	v_fma_f64 v[110:111], v[78:79], v[40:41], v[110:111]
	v_fma_f64 v[86:87], v[86:87], v[48:49], v[123:124]
	v_fma_f64 v[88:89], v[88:89], v[56:57], -v[125:126]
	v_fma_f64 v[92:93], v[92:93], v[68:69], -v[127:128]
	v_fma_f64 v[94:95], v[94:95], v[68:69], v[129:130]
	v_fma_f64 v[96:97], v[96:97], v[64:65], -v[131:132]
	v_fma_f64 v[100:101], v[100:101], v[60:61], -v[133:134]
	v_fma_f64 v[98:99], v[98:99], v[64:65], v[135:136]
	v_fma_f64 v[90:91], v[90:91], v[56:57], v[137:138]
	;; [unrolled: 1-line block ×3, first 2 shown]
	ds_load_b128 v[72:75], v113
	ds_load_b128 v[76:79], v113 offset:880
	v_add_f64_e64 v[153:154], v[80:81], -v[84:85]
	v_add_f64_e32 v[119:120], v[104:105], v[84:85]
	s_wait_dscnt 0x1
	v_add_f64_e32 v[133:134], v[72:73], v[104:105]
	v_add_f64_e32 v[117:118], v[108:109], v[80:81]
	;; [unrolled: 1-line block ×4, first 2 shown]
	v_add_f64_e64 v[135:136], v[106:107], -v[86:87]
	v_add_f64_e64 v[137:138], v[110:111], -v[82:83]
	v_add_f64_e32 v[139:140], v[74:75], v[106:107]
	v_add_f64_e32 v[125:126], v[92:93], v[96:97]
	;; [unrolled: 1-line block ×4, first 2 shown]
	v_add_f64_e64 v[141:142], v[104:105], -v[84:85]
	v_add_f64_e32 v[131:132], v[90:91], v[102:103]
	v_add_f64_e64 v[143:144], v[108:109], -v[80:81]
	s_wait_dscnt 0x0
	v_add_f64_e32 v[145:146], v[76:77], v[88:89]
	v_add_f64_e32 v[147:148], v[78:79], v[90:91]
	v_add_f64_e64 v[149:150], v[90:91], -v[102:103]
	v_add_f64_e64 v[151:152], v[88:89], -v[100:101]
	;; [unrolled: 1-line block ×14, first 2 shown]
	v_fma_f64 v[117:118], v[117:118], -0.5, v[72:73]
	v_fma_f64 v[72:73], v[119:120], -0.5, v[72:73]
	v_add_f64_e64 v[119:120], v[94:95], -v[98:99]
	v_fma_f64 v[121:122], v[121:122], -0.5, v[74:75]
	v_fma_f64 v[74:75], v[123:124], -0.5, v[74:75]
	v_add_f64_e64 v[123:124], v[92:93], -v[96:97]
	v_fma_f64 v[125:126], v[125:126], -0.5, v[76:77]
	v_fma_f64 v[76:77], v[127:128], -0.5, v[76:77]
	;; [unrolled: 1-line block ×3, first 2 shown]
	v_add_f64_e64 v[127:128], v[104:105], -v[108:109]
	v_fma_f64 v[78:79], v[131:132], -0.5, v[78:79]
	v_add_f64_e64 v[131:132], v[84:85], -v[80:81]
	v_add_f64_e64 v[104:105], v[108:109], -v[104:105]
	v_add_f64_e32 v[108:109], v[133:134], v[108:109]
	v_add_f64_e32 v[110:111], v[139:140], v[110:111]
	;; [unrolled: 1-line block ×6, first 2 shown]
	v_fma_f64 v[133:134], v[135:136], s[10:11], v[117:118]
	v_fma_f64 v[117:118], v[135:136], s[16:17], v[117:118]
	;; [unrolled: 1-line block ×16, first 2 shown]
	v_add_f64_e32 v[127:128], v[127:128], v[131:132]
	v_add_f64_e32 v[104:105], v[104:105], v[153:154]
	;; [unrolled: 1-line block ×10, first 2 shown]
	v_fma_f64 v[92:93], v[137:138], s[6:7], v[133:134]
	v_fma_f64 v[94:95], v[137:138], s[14:15], v[117:118]
	;; [unrolled: 1-line block ×16, first 2 shown]
	v_add_f64_e32 v[72:73], v[80:81], v[84:85]
	v_add_f64_e32 v[74:75], v[82:83], v[86:87]
	;; [unrolled: 1-line block ×4, first 2 shown]
	v_fma_f64 v[76:77], v[127:128], s[18:19], v[92:93]
	v_fma_f64 v[96:97], v[127:128], s[18:19], v[94:95]
	v_fma_f64 v[80:81], v[104:105], s[18:19], v[98:99]
	v_fma_f64 v[88:89], v[104:105], s[18:19], v[117:118]
	v_fma_f64 v[78:79], v[131:132], s[18:19], v[133:134]
	v_fma_f64 v[98:99], v[131:132], s[18:19], v[121:122]
	v_fma_f64 v[82:83], v[106:107], s[18:19], v[135:136]
	v_fma_f64 v[90:91], v[106:107], s[18:19], v[137:138]
	v_fma_f64 v[104:105], v[153:154], s[18:19], v[139:140]
	v_fma_f64 v[106:107], v[157:158], s[18:19], v[141:142]
	v_fma_f64 v[100:101], v[155:156], s[18:19], v[143:144]
	v_fma_f64 v[102:103], v[159:160], s[18:19], v[145:146]
	v_fma_f64 v[92:93], v[155:156], s[18:19], v[147:148]
	v_fma_f64 v[94:95], v[159:160], s[18:19], v[149:150]
	v_fma_f64 v[84:85], v[153:154], s[18:19], v[119:120]
	v_fma_f64 v[86:87], v[157:158], s[18:19], v[123:124]
	ds_store_b128 v113, v[72:75]
	ds_store_b128 v113, v[108:111] offset:880
	ds_store_b128 v113, v[76:79] offset:1760
	ds_store_b128 v113, v[104:107] offset:2640
	ds_store_b128 v113, v[80:83] offset:3520
	ds_store_b128 v113, v[100:103] offset:4400
	ds_store_b128 v113, v[88:91] offset:5280
	ds_store_b128 v113, v[92:95] offset:6160
	ds_store_b128 v113, v[96:99] offset:7040
	ds_store_b128 v113, v[84:87] offset:7920
	global_wb scope:SCOPE_SE
	s_wait_dscnt 0x0
	s_barrier_signal -1
	s_barrier_wait -1
	global_inv scope:SCOPE_SE
	s_and_saveexec_b32 s6, vcc_lo
	s_cbranch_execz .LBB0_9
; %bb.8:
	s_add_nc_u64 s[4:5], s[12:13], 0x2260
	s_clause 0xa
	global_load_b128 v[117:120], v113, s[12:13] offset:8800
	global_load_b128 v[121:124], v113, s[4:5] offset:800
	;; [unrolled: 1-line block ×11, first 2 shown]
	ds_load_b128 v[161:164], v113
	ds_load_b128 v[165:168], v113 offset:800
	ds_load_b128 v[169:172], v113 offset:1600
	;; [unrolled: 1-line block ×10, first 2 shown]
	s_wait_loadcnt_dscnt 0xa0a
	v_mul_f64_e32 v[205:206], v[163:164], v[119:120]
	v_mul_f64_e32 v[119:120], v[161:162], v[119:120]
	s_wait_loadcnt_dscnt 0x909
	v_mul_f64_e32 v[207:208], v[167:168], v[123:124]
	v_mul_f64_e32 v[123:124], v[165:166], v[123:124]
	s_wait_loadcnt_dscnt 0x808
	v_mul_f64_e32 v[209:210], v[171:172], v[127:128]
	v_mul_f64_e32 v[127:128], v[169:170], v[127:128]
	s_wait_loadcnt_dscnt 0x707
	v_mul_f64_e32 v[211:212], v[175:176], v[131:132]
	v_mul_f64_e32 v[131:132], v[173:174], v[131:132]
	s_wait_loadcnt_dscnt 0x606
	v_mul_f64_e32 v[213:214], v[179:180], v[135:136]
	v_mul_f64_e32 v[135:136], v[177:178], v[135:136]
	s_wait_loadcnt_dscnt 0x505
	v_mul_f64_e32 v[215:216], v[183:184], v[139:140]
	v_mul_f64_e32 v[139:140], v[181:182], v[139:140]
	s_wait_loadcnt_dscnt 0x404
	v_mul_f64_e32 v[217:218], v[187:188], v[143:144]
	v_mul_f64_e32 v[143:144], v[185:186], v[143:144]
	s_wait_loadcnt_dscnt 0x303
	v_mul_f64_e32 v[219:220], v[191:192], v[147:148]
	v_mul_f64_e32 v[147:148], v[189:190], v[147:148]
	s_wait_loadcnt_dscnt 0x202
	v_mul_f64_e32 v[221:222], v[195:196], v[151:152]
	v_mul_f64_e32 v[151:152], v[193:194], v[151:152]
	s_wait_loadcnt_dscnt 0x101
	v_mul_f64_e32 v[223:224], v[199:200], v[155:156]
	v_mul_f64_e32 v[155:156], v[197:198], v[155:156]
	s_wait_loadcnt_dscnt 0x0
	v_mul_f64_e32 v[225:226], v[203:204], v[159:160]
	v_mul_f64_e32 v[227:228], v[201:202], v[159:160]
	v_fma_f64 v[159:160], v[161:162], v[117:118], -v[205:206]
	v_fma_f64 v[161:162], v[163:164], v[117:118], v[119:120]
	v_fma_f64 v[117:118], v[165:166], v[121:122], -v[207:208]
	v_fma_f64 v[119:120], v[167:168], v[121:122], v[123:124]
	;; [unrolled: 2-line block ×11, first 2 shown]
	ds_store_b128 v113, v[159:162]
	ds_store_b128 v113, v[117:120] offset:800
	ds_store_b128 v113, v[121:124] offset:1600
	ds_store_b128 v113, v[125:128] offset:2400
	ds_store_b128 v113, v[129:132] offset:3200
	ds_store_b128 v113, v[133:136] offset:4000
	ds_store_b128 v113, v[137:140] offset:4800
	ds_store_b128 v113, v[141:144] offset:5600
	ds_store_b128 v113, v[145:148] offset:6400
	ds_store_b128 v113, v[149:152] offset:7200
	ds_store_b128 v113, v[153:156] offset:8000
.LBB0_9:
	s_wait_alu 0xfffe
	s_or_b32 exec_lo, exec_lo, s6
	global_wb scope:SCOPE_SE
	s_wait_dscnt 0x0
	s_barrier_signal -1
	s_barrier_wait -1
	global_inv scope:SCOPE_SE
	s_and_saveexec_b32 s4, vcc_lo
	s_cbranch_execz .LBB0_11
; %bb.10:
	ds_load_b128 v[72:75], v113
	ds_load_b128 v[76:79], v113 offset:800
	ds_load_b128 v[80:83], v113 offset:1600
	;; [unrolled: 1-line block ×10, first 2 shown]
.LBB0_11:
	s_wait_alu 0xfffe
	s_or_b32 exec_lo, exec_lo, s4
	global_wb scope:SCOPE_SE
	s_wait_dscnt 0x0
	s_barrier_signal -1
	s_barrier_wait -1
	global_inv scope:SCOPE_SE
	s_and_saveexec_b32 s33, vcc_lo
	s_cbranch_execz .LBB0_13
; %bb.12:
	v_add_f64_e32 v[117:118], v[74:75], v[78:79]
	v_add_f64_e32 v[119:120], v[72:73], v[76:77]
	v_add_f64_e64 v[121:122], v[108:109], -v[104:105]
	v_add_f64_e32 v[123:124], v[110:111], v[106:107]
	v_add_f64_e64 v[125:126], v[98:99], -v[102:103]
	v_add_f64_e32 v[127:128], v[96:97], v[100:101]
	v_add_f64_e32 v[129:130], v[90:91], v[94:95]
	;; [unrolled: 1-line block ×5, first 2 shown]
	s_mov_b32 s27, 0x3fed1bb4
	s_mov_b32 s26, 0x8eee2c13
	;; [unrolled: 1-line block ×11, first 2 shown]
	s_wait_alu 0xfffe
	s_mov_b32 s28, s16
	s_mov_b32 s10, 0x640f44db
	;; [unrolled: 1-line block ×15, first 2 shown]
	v_and_b32_e32 v115, 0xffff, v115
	v_add_f64_e32 v[117:118], v[117:118], v[82:83]
	v_add_f64_e32 v[119:120], v[119:120], v[80:81]
	v_mul_f64_e32 v[171:172], s[24:25], v[121:122]
	s_delay_alu instid0(VALU_DEP_4) | instskip(NEXT) | instid1(VALU_DEP_4)
	v_lshlrev_b32_e32 v115, 4, v115
	v_add_f64_e32 v[117:118], v[117:118], v[90:91]
	s_delay_alu instid0(VALU_DEP_4) | instskip(NEXT) | instid1(VALU_DEP_2)
	v_add_f64_e32 v[119:120], v[119:120], v[88:89]
	v_add_f64_e32 v[117:118], v[117:118], v[98:99]
	s_delay_alu instid0(VALU_DEP_2) | instskip(NEXT) | instid1(VALU_DEP_2)
	v_add_f64_e32 v[119:120], v[119:120], v[96:97]
	v_add_f64_e32 v[117:118], v[117:118], v[110:111]
	s_delay_alu instid0(VALU_DEP_2) | instskip(SKIP_2) | instid1(VALU_DEP_4)
	v_add_f64_e32 v[119:120], v[119:120], v[108:109]
	v_add_f64_e64 v[110:111], v[110:111], -v[106:107]
	v_add_f64_e32 v[108:109], v[108:109], v[104:105]
	v_add_f64_e32 v[106:107], v[117:118], v[106:107]
	s_delay_alu instid0(VALU_DEP_4)
	v_add_f64_e32 v[104:105], v[119:120], v[104:105]
	v_add_f64_e64 v[117:118], v[96:97], -v[100:101]
	v_add_f64_e32 v[119:120], v[98:99], v[102:103]
	v_mul_f64_e32 v[173:174], s[24:25], v[110:111]
	v_add_f64_e32 v[96:97], v[106:107], v[102:103]
	v_add_f64_e32 v[98:99], v[104:105], v[100:101]
	v_add_f64_e64 v[100:101], v[88:89], -v[92:93]
	v_add_f64_e64 v[102:103], v[90:91], -v[94:95]
	;; [unrolled: 1-line block ×4, first 2 shown]
	v_add_f64_e32 v[88:89], v[96:97], v[94:95]
	v_add_f64_e32 v[90:91], v[98:99], v[92:93]
	v_mul_f64_e32 v[92:93], s[26:27], v[100:101]
	v_mul_f64_e32 v[94:95], s[26:27], v[102:103]
	s_delay_alu instid0(VALU_DEP_4) | instskip(NEXT) | instid1(VALU_DEP_4)
	v_add_f64_e32 v[80:81], v[88:89], v[86:87]
	v_add_f64_e32 v[82:83], v[90:91], v[84:85]
	v_add_f64_e64 v[84:85], v[76:77], -v[0:1]
	v_add_f64_e64 v[86:87], v[78:79], -v[2:3]
	v_add_f64_e32 v[78:79], v[78:79], v[2:3]
	v_add_f64_e32 v[76:77], v[76:77], v[0:1]
	v_mul_f64_e32 v[88:89], s[26:27], v[121:122]
	v_mul_f64_e32 v[90:91], s[26:27], v[110:111]
	v_add_f64_e32 v[2:3], v[80:81], v[2:3]
	v_add_f64_e32 v[0:1], v[82:83], v[0:1]
	v_mul_f64_e32 v[80:81], s[26:27], v[117:118]
	v_mul_f64_e32 v[82:83], s[26:27], v[125:126]
	s_mov_b32 s27, 0xbfed1bb4
	v_mul_f64_e32 v[96:97], s[22:23], v[84:85]
	v_mul_f64_e32 v[98:99], s[20:21], v[84:85]
	;; [unrolled: 1-line block ×3, first 2 shown]
	s_wait_alu 0xfffe
	v_mul_f64_e32 v[139:140], s[28:29], v[84:85]
	v_mul_f64_e32 v[84:85], s[26:27], v[84:85]
	;; [unrolled: 1-line block ×5, first 2 shown]
	v_fma_f64 v[141:142], v[78:79], s[4:5], v[96:97]
	v_fma_f64 v[96:97], v[78:79], s[4:5], -v[96:97]
	v_fma_f64 v[143:144], v[78:79], s[6:7], v[98:99]
	v_fma_f64 v[98:99], v[78:79], s[6:7], -v[98:99]
	;; [unrolled: 2-line block ×4, first 2 shown]
	v_fma_f64 v[149:150], v[78:79], s[14:15], -v[84:85]
	v_fma_f64 v[78:79], v[78:79], s[14:15], v[84:85]
	v_mul_f64_e32 v[84:85], s[22:23], v[86:87]
	v_mul_f64_e32 v[86:87], s[26:27], v[86:87]
	v_fma_f64 v[159:160], v[76:77], s[6:7], -v[151:152]
	v_fma_f64 v[151:152], v[76:77], s[6:7], v[151:152]
	v_fma_f64 v[161:162], v[76:77], s[10:11], -v[153:154]
	v_fma_f64 v[153:154], v[76:77], s[10:11], v[153:154]
	v_fma_f64 v[163:164], v[76:77], s[18:19], v[155:156]
	v_fma_f64 v[155:156], v[76:77], s[18:19], -v[155:156]
	v_add_f64_e32 v[96:97], v[74:75], v[96:97]
	v_add_f64_e32 v[143:144], v[74:75], v[143:144]
	;; [unrolled: 1-line block ×8, first 2 shown]
	v_fma_f64 v[157:158], v[76:77], s[4:5], -v[84:85]
	v_fma_f64 v[84:85], v[76:77], s[4:5], v[84:85]
	v_fma_f64 v[165:166], v[76:77], s[14:15], v[86:87]
	v_fma_f64 v[76:77], v[76:77], s[14:15], -v[86:87]
	v_add_f64_e32 v[86:87], v[74:75], v[141:142]
	v_add_f64_e32 v[151:152], v[72:73], v[151:152]
	v_add_f64_e32 v[153:154], v[72:73], v[153:154]
	v_add_f64_e32 v[155:156], v[72:73], v[155:156]
	v_add_f64_e32 v[141:142], v[72:73], v[157:158]
	v_add_f64_e32 v[84:85], v[72:73], v[84:85]
	v_add_f64_e32 v[157:158], v[72:73], v[159:160]
	v_add_f64_e32 v[167:168], v[72:73], v[76:77]
	v_mul_f64_e32 v[76:77], s[16:17], v[104:105]
	v_add_f64_e32 v[159:160], v[72:73], v[161:162]
	v_add_f64_e32 v[161:162], v[72:73], v[163:164]
	;; [unrolled: 1-line block ×4, first 2 shown]
	v_mul_f64_e32 v[78:79], s[16:17], v[106:107]
	v_fma_f64 v[72:73], v[133:134], s[18:19], v[76:77]
	v_fma_f64 v[76:77], v[133:134], s[18:19], -v[76:77]
	s_delay_alu instid0(VALU_DEP_3) | instskip(SKIP_1) | instid1(VALU_DEP_4)
	v_fma_f64 v[74:75], v[135:136], s[18:19], -v[78:79]
	v_fma_f64 v[78:79], v[135:136], s[18:19], v[78:79]
	v_add_f64_e32 v[72:73], v[72:73], v[86:87]
	v_mul_f64_e32 v[86:87], s[20:21], v[100:101]
	v_add_f64_e32 v[76:77], v[76:77], v[96:97]
	v_mul_f64_e32 v[96:97], s[28:29], v[100:101]
	v_add_f64_e32 v[74:75], v[74:75], v[141:142]
	v_add_f64_e32 v[78:79], v[78:79], v[84:85]
	v_fma_f64 v[141:142], v[129:130], s[6:7], v[86:87]
	v_fma_f64 v[84:85], v[129:130], s[6:7], -v[86:87]
	v_mul_f64_e32 v[86:87], s[30:31], v[106:107]
	s_delay_alu instid0(VALU_DEP_3) | instskip(SKIP_1) | instid1(VALU_DEP_4)
	v_add_f64_e32 v[72:73], v[141:142], v[72:73]
	v_mul_f64_e32 v[141:142], s[20:21], v[102:103]
	v_add_f64_e32 v[76:77], v[84:85], v[76:77]
	s_delay_alu instid0(VALU_DEP_2) | instskip(SKIP_3) | instid1(VALU_DEP_4)
	v_fma_f64 v[169:170], v[131:132], s[6:7], -v[141:142]
	v_fma_f64 v[84:85], v[131:132], s[6:7], v[141:142]
	v_fma_f64 v[141:142], v[129:130], s[18:19], v[96:97]
	v_fma_f64 v[96:97], v[129:130], s[18:19], -v[96:97]
	v_add_f64_e32 v[74:75], v[169:170], v[74:75]
	v_fma_f64 v[169:170], v[119:120], s[14:15], v[80:81]
	v_fma_f64 v[80:81], v[119:120], s[14:15], -v[80:81]
	v_add_f64_e32 v[78:79], v[84:85], v[78:79]
	v_mul_f64_e32 v[84:85], s[30:31], v[104:105]
	s_delay_alu instid0(VALU_DEP_4) | instskip(NEXT) | instid1(VALU_DEP_4)
	v_add_f64_e32 v[72:73], v[169:170], v[72:73]
	v_add_f64_e32 v[76:77], v[80:81], v[76:77]
	v_fma_f64 v[80:81], v[127:128], s[14:15], v[82:83]
	v_fma_f64 v[169:170], v[127:128], s[14:15], -v[82:83]
	v_fma_f64 v[82:83], v[108:109], s[10:11], v[173:174]
	s_delay_alu instid0(VALU_DEP_3) | instskip(SKIP_1) | instid1(VALU_DEP_4)
	v_add_f64_e32 v[80:81], v[80:81], v[78:79]
	v_fma_f64 v[78:79], v[123:124], s[10:11], -v[171:172]
	v_add_f64_e32 v[169:170], v[169:170], v[74:75]
	v_fma_f64 v[74:75], v[123:124], s[10:11], v[171:172]
	s_delay_alu instid0(VALU_DEP_3)
	v_add_f64_e32 v[78:79], v[78:79], v[76:77]
	v_add_f64_e32 v[76:77], v[82:83], v[80:81]
	v_fma_f64 v[80:81], v[133:134], s[10:11], v[84:85]
	v_fma_f64 v[82:83], v[135:136], s[10:11], -v[86:87]
	v_fma_f64 v[84:85], v[133:134], s[10:11], -v[84:85]
	v_fma_f64 v[86:87], v[135:136], s[10:11], v[86:87]
	v_add_f64_e32 v[74:75], v[74:75], v[72:73]
	v_fma_f64 v[72:73], v[108:109], s[10:11], -v[173:174]
	v_add_f64_e32 v[80:81], v[80:81], v[143:144]
	v_add_f64_e32 v[82:83], v[82:83], v[157:158]
	;; [unrolled: 1-line block ×4, first 2 shown]
	v_mul_f64_e32 v[98:99], s[34:35], v[106:107]
	v_add_f64_e32 v[72:73], v[72:73], v[169:170]
	v_mul_f64_e32 v[151:152], s[20:21], v[121:122]
	v_add_f64_e32 v[80:81], v[141:142], v[80:81]
	;; [unrolled: 2-line block ×3, first 2 shown]
	s_delay_alu instid0(VALU_DEP_2) | instskip(SKIP_3) | instid1(VALU_DEP_4)
	v_fma_f64 v[143:144], v[131:132], s[18:19], -v[141:142]
	v_fma_f64 v[96:97], v[131:132], s[18:19], v[141:142]
	v_fma_f64 v[141:142], v[129:130], s[14:15], v[92:93]
	v_fma_f64 v[92:93], v[129:130], s[14:15], -v[92:93]
	v_add_f64_e32 v[82:83], v[143:144], v[82:83]
	v_mul_f64_e32 v[143:144], s[22:23], v[117:118]
	v_add_f64_e32 v[86:87], v[96:97], v[86:87]
	s_delay_alu instid0(VALU_DEP_2) | instskip(SKIP_1) | instid1(VALU_DEP_2)
	v_fma_f64 v[157:158], v[119:120], s[4:5], v[143:144]
	v_fma_f64 v[96:97], v[119:120], s[4:5], -v[143:144]
	v_add_f64_e32 v[80:81], v[157:158], v[80:81]
	v_mul_f64_e32 v[157:158], s[22:23], v[125:126]
	s_delay_alu instid0(VALU_DEP_3) | instskip(NEXT) | instid1(VALU_DEP_2)
	v_add_f64_e32 v[84:85], v[96:97], v[84:85]
	v_fma_f64 v[169:170], v[127:128], s[4:5], -v[157:158]
	v_fma_f64 v[96:97], v[127:128], s[4:5], v[157:158]
	v_mul_f64_e32 v[157:158], s[20:21], v[110:111]
	s_delay_alu instid0(VALU_DEP_3) | instskip(SKIP_1) | instid1(VALU_DEP_4)
	v_add_f64_e32 v[169:170], v[169:170], v[82:83]
	v_fma_f64 v[82:83], v[123:124], s[14:15], v[88:89]
	v_add_f64_e32 v[96:97], v[96:97], v[86:87]
	v_fma_f64 v[86:87], v[123:124], s[14:15], -v[88:89]
	v_fma_f64 v[88:89], v[108:109], s[14:15], v[90:91]
	s_delay_alu instid0(VALU_DEP_4) | instskip(SKIP_1) | instid1(VALU_DEP_4)
	v_add_f64_e32 v[82:83], v[82:83], v[80:81]
	v_fma_f64 v[80:81], v[108:109], s[14:15], -v[90:91]
	v_add_f64_e32 v[86:87], v[86:87], v[84:85]
	s_delay_alu instid0(VALU_DEP_4) | instskip(SKIP_4) | instid1(VALU_DEP_4)
	v_add_f64_e32 v[84:85], v[88:89], v[96:97]
	v_mul_f64_e32 v[96:97], s[34:35], v[104:105]
	v_fma_f64 v[90:91], v[135:136], s[4:5], -v[98:99]
	v_fma_f64 v[98:99], v[135:136], s[4:5], v[98:99]
	v_add_f64_e32 v[80:81], v[80:81], v[169:170]
	v_fma_f64 v[88:89], v[133:134], s[4:5], v[96:97]
	s_delay_alu instid0(VALU_DEP_4)
	v_add_f64_e32 v[90:91], v[90:91], v[159:160]
	v_fma_f64 v[96:97], v[133:134], s[4:5], -v[96:97]
	v_add_f64_e32 v[98:99], v[98:99], v[153:154]
	v_mul_f64_e32 v[159:160], s[22:23], v[110:111]
	v_mul_f64_e32 v[110:111], s[16:17], v[110:111]
	v_add_f64_e32 v[88:89], v[88:89], v[145:146]
	v_add_f64_e32 v[96:97], v[96:97], v[137:138]
	v_mul_f64_e32 v[137:138], s[26:27], v[104:105]
	v_mul_f64_e32 v[104:105], s[20:21], v[104:105]
	s_delay_alu instid0(VALU_DEP_4) | instskip(SKIP_3) | instid1(VALU_DEP_3)
	v_add_f64_e32 v[88:89], v[141:142], v[88:89]
	v_fma_f64 v[141:142], v[131:132], s[14:15], -v[94:95]
	v_add_f64_e32 v[92:93], v[92:93], v[96:97]
	v_fma_f64 v[94:95], v[131:132], s[14:15], v[94:95]
	v_add_f64_e32 v[90:91], v[141:142], v[90:91]
	v_mul_f64_e32 v[141:142], s[28:29], v[117:118]
	s_delay_alu instid0(VALU_DEP_3) | instskip(SKIP_1) | instid1(VALU_DEP_3)
	v_add_f64_e32 v[94:95], v[94:95], v[98:99]
	v_fma_f64 v[98:99], v[108:109], s[6:7], v[157:158]
	v_fma_f64 v[143:144], v[119:120], s[18:19], v[141:142]
	v_fma_f64 v[96:97], v[119:120], s[18:19], -v[141:142]
	v_mul_f64_e32 v[141:142], s[24:25], v[100:101]
	s_delay_alu instid0(VALU_DEP_3) | instskip(SKIP_1) | instid1(VALU_DEP_4)
	v_add_f64_e32 v[88:89], v[143:144], v[88:89]
	v_mul_f64_e32 v[143:144], s[28:29], v[125:126]
	v_add_f64_e32 v[92:93], v[96:97], v[92:93]
	s_delay_alu instid0(VALU_DEP_2) | instskip(SKIP_2) | instid1(VALU_DEP_3)
	v_fma_f64 v[96:97], v[127:128], s[18:19], v[143:144]
	v_fma_f64 v[145:146], v[127:128], s[18:19], -v[143:144]
	v_fma_f64 v[143:144], v[129:130], s[10:11], -v[141:142]
	v_add_f64_e32 v[96:97], v[96:97], v[94:95]
	v_fma_f64 v[94:95], v[123:124], s[6:7], -v[151:152]
	s_delay_alu instid0(VALU_DEP_4) | instskip(SKIP_1) | instid1(VALU_DEP_3)
	v_add_f64_e32 v[145:146], v[145:146], v[90:91]
	v_fma_f64 v[90:91], v[123:124], s[6:7], v[151:152]
	v_add_f64_e32 v[94:95], v[94:95], v[92:93]
	v_add_f64_e32 v[92:93], v[98:99], v[96:97]
	v_fma_f64 v[96:97], v[133:134], s[14:15], -v[137:138]
	s_delay_alu instid0(VALU_DEP_4)
	v_add_f64_e32 v[90:91], v[90:91], v[88:89]
	v_fma_f64 v[88:89], v[108:109], s[6:7], -v[157:158]
	v_mul_f64_e32 v[157:158], s[22:23], v[121:122]
	v_mul_f64_e32 v[121:122], s[16:17], v[121:122]
	v_add_f64_e32 v[96:97], v[96:97], v[139:140]
	v_mul_f64_e32 v[139:140], s[26:27], v[106:107]
	v_add_f64_e32 v[88:89], v[88:89], v[145:146]
	v_mul_f64_e32 v[106:107], s[20:21], v[106:107]
	s_delay_alu instid0(VALU_DEP_4) | instskip(NEXT) | instid1(VALU_DEP_4)
	v_add_f64_e32 v[96:97], v[143:144], v[96:97]
	v_fma_f64 v[98:99], v[135:136], s[14:15], v[139:140]
	v_mul_f64_e32 v[143:144], s[24:25], v[102:103]
	s_delay_alu instid0(VALU_DEP_2) | instskip(NEXT) | instid1(VALU_DEP_2)
	v_add_f64_e32 v[98:99], v[98:99], v[161:162]
	v_fma_f64 v[145:146], v[131:132], s[10:11], v[143:144]
	v_mul_f64_e32 v[161:162], s[34:35], v[100:101]
	s_delay_alu instid0(VALU_DEP_2) | instskip(SKIP_1) | instid1(VALU_DEP_3)
	v_add_f64_e32 v[98:99], v[145:146], v[98:99]
	v_mul_f64_e32 v[145:146], s[20:21], v[117:118]
	v_fma_f64 v[100:101], v[129:130], s[4:5], -v[161:162]
	v_mul_f64_e32 v[117:118], s[30:31], v[117:118]
	s_delay_alu instid0(VALU_DEP_3) | instskip(NEXT) | instid1(VALU_DEP_1)
	v_fma_f64 v[151:152], v[119:120], s[6:7], -v[145:146]
	v_add_f64_e32 v[96:97], v[151:152], v[96:97]
	v_mul_f64_e32 v[151:152], s[20:21], v[125:126]
	v_mul_f64_e32 v[125:126], s[30:31], v[125:126]
	s_delay_alu instid0(VALU_DEP_2) | instskip(NEXT) | instid1(VALU_DEP_1)
	v_fma_f64 v[153:154], v[127:128], s[6:7], v[151:152]
	v_add_f64_e32 v[153:154], v[153:154], v[98:99]
	v_fma_f64 v[98:99], v[123:124], s[4:5], -v[157:158]
	s_delay_alu instid0(VALU_DEP_1) | instskip(SKIP_1) | instid1(VALU_DEP_1)
	v_add_f64_e32 v[98:99], v[98:99], v[96:97]
	v_fma_f64 v[96:97], v[108:109], s[4:5], v[159:160]
	v_add_f64_e32 v[96:97], v[96:97], v[153:154]
	v_fma_f64 v[153:154], v[133:134], s[6:7], -v[104:105]
	v_fma_f64 v[104:105], v[133:134], s[6:7], v[104:105]
	s_delay_alu instid0(VALU_DEP_2) | instskip(SKIP_1) | instid1(VALU_DEP_3)
	v_add_f64_e32 v[149:150], v[153:154], v[149:150]
	v_fma_f64 v[153:154], v[135:136], s[6:7], v[106:107]
	v_add_f64_e32 v[104:105], v[104:105], v[165:166]
	v_fma_f64 v[106:107], v[135:136], s[6:7], -v[106:107]
	s_delay_alu instid0(VALU_DEP_4) | instskip(SKIP_2) | instid1(VALU_DEP_4)
	v_add_f64_e32 v[100:101], v[100:101], v[149:150]
	v_mul_f64_e32 v[149:150], s[34:35], v[102:103]
	v_add_f64_e32 v[153:154], v[153:154], v[163:164]
	v_add_f64_e32 v[106:107], v[106:107], v[167:168]
	s_delay_alu instid0(VALU_DEP_3) | instskip(SKIP_1) | instid1(VALU_DEP_2)
	v_fma_f64 v[102:103], v[131:132], s[4:5], v[149:150]
	v_fma_f64 v[149:150], v[131:132], s[4:5], -v[149:150]
	v_add_f64_e32 v[102:103], v[102:103], v[153:154]
	v_fma_f64 v[153:154], v[119:120], s[10:11], -v[117:118]
	v_fma_f64 v[117:118], v[119:120], s[10:11], v[117:118]
	s_delay_alu instid0(VALU_DEP_4) | instskip(SKIP_1) | instid1(VALU_DEP_4)
	v_add_f64_e32 v[106:107], v[149:150], v[106:107]
	v_fma_f64 v[119:120], v[119:120], s[6:7], v[145:146]
	v_add_f64_e32 v[100:101], v[153:154], v[100:101]
	v_fma_f64 v[153:154], v[127:128], s[10:11], v[125:126]
	s_delay_alu instid0(VALU_DEP_1) | instskip(SKIP_1) | instid1(VALU_DEP_1)
	v_add_f64_e32 v[153:154], v[153:154], v[102:103]
	v_fma_f64 v[102:103], v[123:124], s[18:19], -v[121:122]
	v_add_f64_e32 v[102:103], v[102:103], v[100:101]
	v_fma_f64 v[100:101], v[108:109], s[18:19], v[110:111]
	v_fma_f64 v[110:111], v[108:109], s[18:19], -v[110:111]
	v_fma_f64 v[108:109], v[108:109], s[4:5], -v[159:160]
	s_delay_alu instid0(VALU_DEP_3) | instskip(SKIP_1) | instid1(VALU_DEP_1)
	v_add_f64_e32 v[100:101], v[100:101], v[153:154]
	v_fma_f64 v[153:154], v[129:130], s[4:5], v[161:162]
	v_add_f64_e32 v[104:105], v[153:154], v[104:105]
	s_delay_alu instid0(VALU_DEP_1) | instskip(SKIP_3) | instid1(VALU_DEP_3)
	v_add_f64_e32 v[104:105], v[117:118], v[104:105]
	v_fma_f64 v[117:118], v[127:128], s[10:11], -v[125:126]
	v_fma_f64 v[125:126], v[131:132], s[10:11], -v[143:144]
	;; [unrolled: 1-line block ×3, first 2 shown]
	v_add_f64_e32 v[117:118], v[117:118], v[106:107]
	v_fma_f64 v[106:107], v[123:124], s[18:19], v[121:122]
	v_fma_f64 v[121:122], v[129:130], s[10:11], v[141:142]
	s_delay_alu instid0(VALU_DEP_2) | instskip(NEXT) | instid1(VALU_DEP_4)
	v_add_f64_e32 v[106:107], v[106:107], v[104:105]
	v_add_f64_e32 v[104:105], v[110:111], v[117:118]
	v_fma_f64 v[110:111], v[133:134], s[14:15], v[137:138]
	v_fma_f64 v[117:118], v[135:136], s[14:15], -v[139:140]
	s_delay_alu instid0(VALU_DEP_2) | instskip(NEXT) | instid1(VALU_DEP_2)
	v_add_f64_e32 v[110:111], v[110:111], v[147:148]
	v_add_f64_e32 v[117:118], v[117:118], v[155:156]
	s_delay_alu instid0(VALU_DEP_2) | instskip(NEXT) | instid1(VALU_DEP_2)
	v_add_f64_e32 v[110:111], v[121:122], v[110:111]
	v_add_f64_e32 v[117:118], v[125:126], v[117:118]
	v_fma_f64 v[121:122], v[123:124], s[4:5], v[157:158]
	s_delay_alu instid0(VALU_DEP_3) | instskip(NEXT) | instid1(VALU_DEP_3)
	v_add_f64_e32 v[110:111], v[119:120], v[110:111]
	v_add_f64_e32 v[117:118], v[127:128], v[117:118]
	s_delay_alu instid0(VALU_DEP_2) | instskip(NEXT) | instid1(VALU_DEP_2)
	v_add_f64_e32 v[110:111], v[121:122], v[110:111]
	v_add_f64_e32 v[108:109], v[108:109], v[117:118]
	ds_store_b128 v115, v[84:87] offset:64
	ds_store_b128 v115, v[76:79] offset:80
	;; [unrolled: 1-line block ×9, first 2 shown]
	ds_store_b128 v115, v[0:3]
	ds_store_b128 v115, v[108:111] offset:160
.LBB0_13:
	s_or_b32 exec_lo, exec_lo, s33
	global_wb scope:SCOPE_SE
	s_wait_dscnt 0x0
	s_barrier_signal -1
	s_barrier_wait -1
	global_inv scope:SCOPE_SE
	ds_load_b128 v[0:3], v113 offset:2640
	ds_load_b128 v[72:75], v113 offset:4400
	;; [unrolled: 1-line block ×6, first 2 shown]
	s_mov_b32 s10, 0x134454ff
	s_mov_b32 s11, 0xbfee6f0e
	;; [unrolled: 1-line block ×3, first 2 shown]
	s_wait_alu 0xfffe
	s_mov_b32 s14, s10
	s_mov_b32 s4, 0x4755a5e
	;; [unrolled: 1-line block ×4, first 2 shown]
	s_wait_alu 0xfffe
	s_mov_b32 s6, s4
	s_mov_b32 s16, 0x372fe950
	;; [unrolled: 1-line block ×6, first 2 shown]
	s_wait_alu 0xfffe
	s_mov_b32 s20, s16
	s_mov_b32 s23, 0xbfe9e377
	s_wait_dscnt 0x5
	v_mul_f64_e32 v[92:93], v[26:27], v[0:1]
	s_wait_dscnt 0x4
	v_mul_f64_e32 v[94:95], v[34:35], v[72:73]
	;; [unrolled: 2-line block ×5, first 2 shown]
	v_mul_f64_e32 v[26:27], v[26:27], v[2:3]
	v_mul_f64_e32 v[34:35], v[34:35], v[74:75]
	;; [unrolled: 1-line block ×5, first 2 shown]
	s_mov_b32 s22, s18
	v_fma_f64 v[106:107], v[24:25], v[2:3], -v[92:93]
	v_fma_f64 v[74:75], v[32:33], v[74:75], -v[94:95]
	;; [unrolled: 1-line block ×4, first 2 shown]
	ds_load_b128 v[92:95], v113 offset:3520
	ds_load_b128 v[96:99], v113 offset:5280
	;; [unrolled: 1-line block ×3, first 2 shown]
	s_wait_dscnt 0x3
	v_mul_f64_e32 v[2:3], v[22:23], v[90:91]
	v_mul_f64_e32 v[22:23], v[22:23], v[88:89]
	v_fma_f64 v[24:25], v[24:25], v[0:1], v[26:27]
	v_fma_f64 v[26:27], v[32:33], v[72:73], v[34:35]
	;; [unrolled: 1-line block ×4, first 2 shown]
	v_fma_f64 v[32:33], v[4:5], v[86:87], -v[104:105]
	v_fma_f64 v[4:5], v[4:5], v[84:85], v[6:7]
	s_wait_dscnt 0x2
	v_mul_f64_e32 v[108:109], v[18:19], v[94:95]
	v_mul_f64_e32 v[18:19], v[18:19], v[92:93]
	s_wait_dscnt 0x1
	v_mul_f64_e32 v[110:111], v[14:15], v[98:99]
	s_wait_dscnt 0x0
	v_mul_f64_e32 v[117:118], v[10:11], v[102:103]
	v_mul_f64_e32 v[14:15], v[14:15], v[96:97]
	;; [unrolled: 1-line block ×3, first 2 shown]
	v_add_f64_e32 v[0:1], v[74:75], v[78:79]
	v_add_f64_e32 v[34:35], v[106:107], v[82:83]
	v_fma_f64 v[36:37], v[20:21], v[88:89], v[2:3]
	v_fma_f64 v[20:21], v[20:21], v[90:91], -v[22:23]
	v_add_f64_e64 v[90:91], v[106:107], -v[82:83]
	v_add_f64_e64 v[121:122], v[24:25], -v[26:27]
	v_add_f64_e32 v[6:7], v[26:27], v[28:29]
	v_add_f64_e64 v[72:73], v[26:27], -v[28:29]
	v_add_f64_e64 v[123:124], v[30:31], -v[28:29]
	;; [unrolled: 1-line block ×3, first 2 shown]
	v_fma_f64 v[22:23], v[16:17], v[92:93], v[108:109]
	v_fma_f64 v[16:17], v[16:17], v[94:95], -v[18:19]
	v_fma_f64 v[18:19], v[12:13], v[96:97], v[110:111]
	v_fma_f64 v[38:39], v[8:9], v[100:101], v[117:118]
	v_fma_f64 v[12:13], v[12:13], v[98:99], -v[14:15]
	v_fma_f64 v[8:9], v[8:9], v[102:103], -v[10:11]
	v_add_f64_e32 v[10:11], v[24:25], v[30:31]
	v_add_f64_e64 v[14:15], v[24:25], -v[30:31]
	v_add_f64_e64 v[92:93], v[106:107], -v[74:75]
	;; [unrolled: 1-line block ×6, first 2 shown]
	v_fma_f64 v[76:77], v[0:1], -0.5, v[32:33]
	v_fma_f64 v[34:35], v[34:35], -0.5, v[32:33]
	ds_load_b128 v[0:3], v113
	v_add_f64_e32 v[32:33], v[32:33], v[106:107]
	global_wb scope:SCOPE_SE
	s_wait_dscnt 0x0
	s_barrier_signal -1
	s_barrier_wait -1
	v_fma_f64 v[6:7], v[6:7], -0.5, v[4:5]
	global_inv scope:SCOPE_SE
	v_add_f64_e64 v[127:128], v[20:21], -v[16:17]
	v_add_f64_e32 v[80:81], v[22:23], v[18:19]
	v_add_f64_e32 v[84:85], v[36:37], v[38:39]
	;; [unrolled: 1-line block ×4, first 2 shown]
	v_fma_f64 v[10:11], v[10:11], -0.5, v[4:5]
	v_add_f64_e32 v[108:109], v[0:1], v[36:37]
	v_add_f64_e32 v[119:120], v[2:3], v[20:21]
	;; [unrolled: 1-line block ×3, first 2 shown]
	v_add_f64_e64 v[110:111], v[20:21], -v[8:9]
	v_add_f64_e64 v[24:25], v[26:27], -v[24:25]
	;; [unrolled: 1-line block ×7, first 2 shown]
	v_fma_f64 v[102:103], v[14:15], s[14:15], v[76:77]
	v_fma_f64 v[104:105], v[72:73], s[10:11], v[34:35]
	;; [unrolled: 1-line block ×4, first 2 shown]
	v_add_f64_e32 v[32:33], v[32:33], v[74:75]
	v_fma_f64 v[80:81], v[80:81], -0.5, v[0:1]
	v_fma_f64 v[0:1], v[84:85], -0.5, v[0:1]
	;; [unrolled: 1-line block ×4, first 2 shown]
	v_add_f64_e32 v[88:89], v[92:93], v[94:95]
	v_add_f64_e32 v[92:93], v[96:97], v[98:99]
	v_fma_f64 v[94:95], v[90:91], s[10:11], v[6:7]
	v_fma_f64 v[6:7], v[90:91], s[14:15], v[6:7]
	;; [unrolled: 1-line block ×4, first 2 shown]
	v_add_f64_e64 v[84:85], v[22:23], -v[18:19]
	v_add_f64_e32 v[16:17], v[119:120], v[16:17]
	v_add_f64_e32 v[4:5], v[4:5], v[26:27]
	;; [unrolled: 1-line block ×5, first 2 shown]
	v_fma_f64 v[98:99], v[72:73], s[6:7], v[102:103]
	v_fma_f64 v[102:103], v[14:15], s[6:7], v[104:105]
	;; [unrolled: 1-line block ×4, first 2 shown]
	v_add_f64_e64 v[72:73], v[36:37], -v[22:23]
	v_add_f64_e64 v[36:37], v[22:23], -v[36:37]
	v_add_f64_e32 v[22:23], v[108:109], v[22:23]
	v_add_f64_e64 v[76:77], v[38:39], -v[18:19]
	v_add_f64_e64 v[104:105], v[18:19], -v[38:39]
	v_fma_f64 v[74:75], v[110:111], s[10:11], v[80:81]
	v_fma_f64 v[80:81], v[110:111], s[14:15], v[80:81]
	;; [unrolled: 1-line block ×12, first 2 shown]
	v_add_f64_e32 v[12:13], v[16:17], v[12:13]
	v_add_f64_e32 v[4:5], v[4:5], v[28:29]
	v_add_f64_e32 v[16:17], v[32:33], v[78:79]
	v_fma_f64 v[90:91], v[88:89], s[16:17], v[98:99]
	v_fma_f64 v[98:99], v[92:93], s[16:17], v[102:103]
	v_fma_f64 v[14:15], v[92:93], s[16:17], v[14:15]
	v_fma_f64 v[34:35], v[88:89], s[16:17], v[34:35]
	v_add_f64_e32 v[18:19], v[22:23], v[18:19]
	v_add_f64_e32 v[72:73], v[72:73], v[76:77]
	v_add_f64_e32 v[76:77], v[127:128], v[129:130]
	v_add_f64_e32 v[36:37], v[36:37], v[104:105]
	v_fma_f64 v[22:23], v[117:118], s[4:5], v[74:75]
	v_fma_f64 v[28:29], v[117:118], s[6:7], v[80:81]
	;; [unrolled: 1-line block ×12, first 2 shown]
	v_add_f64_e32 v[8:9], v[12:13], v[8:9]
	v_add_f64_e32 v[4:5], v[4:5], v[30:31]
	;; [unrolled: 1-line block ×3, first 2 shown]
	v_mul_f64_e32 v[24:25], s[4:5], v[90:91]
	v_mul_f64_e32 v[90:91], s[18:19], v[90:91]
	;; [unrolled: 1-line block ×5, first 2 shown]
	s_wait_alu 0xfffe
	v_mul_f64_e32 v[14:15], s[20:21], v[14:15]
	v_mul_f64_e32 v[92:93], s[4:5], v[34:35]
	;; [unrolled: 1-line block ×3, first 2 shown]
	v_add_f64_e32 v[18:19], v[18:19], v[38:39]
	v_fma_f64 v[30:31], v[72:73], s[16:17], v[22:23]
	v_fma_f64 v[38:39], v[72:73], s[16:17], v[28:29]
	;; [unrolled: 1-line block ×8, first 2 shown]
	v_add_f64_e32 v[2:3], v[8:9], v[12:13]
	v_fma_f64 v[24:25], v[84:85], s[18:19], v[24:25]
	v_fma_f64 v[84:85], v[84:85], s[6:7], v[90:91]
	;; [unrolled: 1-line block ×8, first 2 shown]
	v_add_f64_e32 v[0:1], v[18:19], v[4:5]
	v_add_f64_e64 v[6:7], v[8:9], -v[12:13]
	v_add_f64_e64 v[4:5], v[18:19], -v[4:5]
	v_add_f64_e32 v[8:9], v[30:31], v[24:25]
	v_add_f64_e32 v[10:11], v[72:73], v[84:85]
	;; [unrolled: 1-line block ×8, first 2 shown]
	v_add_f64_e64 v[24:25], v[30:31], -v[24:25]
	v_add_f64_e64 v[26:27], v[72:73], -v[84:85]
	;; [unrolled: 1-line block ×8, first 2 shown]
	ds_store_b128 v116, v[0:3]
	ds_store_b128 v116, v[8:11] offset:176
	ds_store_b128 v116, v[12:15] offset:352
	;; [unrolled: 1-line block ×9, first 2 shown]
	global_wb scope:SCOPE_SE
	s_wait_dscnt 0x0
	s_barrier_signal -1
	s_barrier_wait -1
	global_inv scope:SCOPE_SE
	ds_load_b128 v[0:3], v113 offset:1760
	ds_load_b128 v[4:7], v113 offset:3520
	;; [unrolled: 1-line block ×8, first 2 shown]
	s_wait_dscnt 0x7
	v_mul_f64_e32 v[32:33], v[46:47], v[2:3]
	v_mul_f64_e32 v[34:35], v[46:47], v[0:1]
	s_wait_dscnt 0x6
	v_mul_f64_e32 v[36:37], v[42:43], v[6:7]
	v_mul_f64_e32 v[38:39], v[42:43], v[4:5]
	;; [unrolled: 3-line block ×3, first 2 shown]
	s_wait_dscnt 0x4
	v_mul_f64_e32 v[54:55], v[50:51], v[14:15]
	s_wait_dscnt 0x2
	v_mul_f64_e32 v[74:75], v[70:71], v[22:23]
	v_mul_f64_e32 v[70:71], v[70:71], v[20:21]
	s_wait_dscnt 0x1
	v_mul_f64_e32 v[76:77], v[66:67], v[26:27]
	v_mul_f64_e32 v[66:67], v[66:67], v[24:25]
	;; [unrolled: 1-line block ×4, first 2 shown]
	s_wait_dscnt 0x0
	v_mul_f64_e32 v[78:79], v[62:63], v[30:31]
	v_mul_f64_e32 v[58:59], v[58:59], v[16:17]
	;; [unrolled: 1-line block ×3, first 2 shown]
	v_fma_f64 v[32:33], v[44:45], v[0:1], v[32:33]
	v_fma_f64 v[34:35], v[44:45], v[2:3], -v[34:35]
	v_fma_f64 v[36:37], v[40:41], v[4:5], v[36:37]
	v_fma_f64 v[38:39], v[40:41], v[6:7], -v[38:39]
	;; [unrolled: 2-line block ×3, first 2 shown]
	v_fma_f64 v[12:13], v[48:49], v[12:13], v[54:55]
	v_fma_f64 v[20:21], v[68:69], v[20:21], v[74:75]
	v_fma_f64 v[22:23], v[68:69], v[22:23], -v[70:71]
	v_fma_f64 v[24:25], v[64:65], v[24:25], v[76:77]
	v_fma_f64 v[26:27], v[64:65], v[26:27], -v[66:67]
	v_fma_f64 v[14:15], v[48:49], v[14:15], -v[50:51]
	v_fma_f64 v[16:17], v[56:57], v[16:17], v[72:73]
	v_fma_f64 v[28:29], v[60:61], v[28:29], v[78:79]
	v_fma_f64 v[18:19], v[56:57], v[18:19], -v[58:59]
	v_fma_f64 v[30:31], v[60:61], v[30:31], -v[62:63]
	ds_load_b128 v[0:3], v113
	ds_load_b128 v[4:7], v113 offset:880
	s_wait_dscnt 0x1
	v_add_f64_e32 v[56:57], v[0:1], v[32:33]
	v_add_f64_e32 v[62:63], v[2:3], v[34:35]
	v_add_f64_e64 v[78:79], v[34:35], -v[38:39]
	v_add_f64_e32 v[40:41], v[36:37], v[8:9]
	v_add_f64_e32 v[44:45], v[38:39], v[10:11]
	;; [unrolled: 1-line block ×3, first 2 shown]
	v_add_f64_e64 v[64:65], v[32:33], -v[12:13]
	v_add_f64_e64 v[60:61], v[38:39], -v[10:11]
	v_add_f64_e32 v[48:49], v[20:21], v[24:25]
	v_add_f64_e32 v[52:53], v[22:23], v[26:27]
	;; [unrolled: 1-line block ×3, first 2 shown]
	s_wait_dscnt 0x0
	v_add_f64_e32 v[68:69], v[4:5], v[16:17]
	v_add_f64_e32 v[50:51], v[16:17], v[28:29]
	;; [unrolled: 1-line block ×4, first 2 shown]
	v_add_f64_e64 v[58:59], v[34:35], -v[14:15]
	v_add_f64_e64 v[72:73], v[18:19], -v[30:31]
	v_add_f64_e64 v[74:75], v[16:17], -v[28:29]
	v_add_f64_e64 v[66:67], v[36:37], -v[8:9]
	v_add_f64_e64 v[34:35], v[38:39], -v[34:35]
	v_add_f64_e64 v[80:81], v[14:15], -v[10:11]
	v_add_f64_e64 v[82:83], v[10:11], -v[14:15]
	v_add_f64_e64 v[84:85], v[16:17], -v[20:21]
	v_add_f64_e64 v[16:17], v[20:21], -v[16:17]
	v_add_f64_e64 v[88:89], v[24:25], -v[28:29]
	v_add_f64_e64 v[90:91], v[18:19], -v[22:23]
	v_add_f64_e64 v[18:19], v[22:23], -v[18:19]
	v_add_f64_e64 v[94:95], v[26:27], -v[30:31]
	v_add_f64_e64 v[76:77], v[8:9], -v[12:13]
	v_add_f64_e64 v[86:87], v[28:29], -v[24:25]
	v_add_f64_e64 v[92:93], v[30:31], -v[26:27]
	v_add_f64_e32 v[38:39], v[62:63], v[38:39]
	v_fma_f64 v[40:41], v[40:41], -0.5, v[0:1]
	v_fma_f64 v[44:45], v[44:45], -0.5, v[2:3]
	;; [unrolled: 1-line block ×3, first 2 shown]
	v_add_f64_e64 v[42:43], v[22:23], -v[26:27]
	v_fma_f64 v[48:49], v[48:49], -0.5, v[4:5]
	v_fma_f64 v[52:53], v[52:53], -0.5, v[6:7]
	;; [unrolled: 1-line block ×3, first 2 shown]
	v_add_f64_e64 v[46:47], v[20:21], -v[24:25]
	v_fma_f64 v[4:5], v[50:51], -0.5, v[4:5]
	v_add_f64_e64 v[50:51], v[32:33], -v[36:37]
	v_fma_f64 v[6:7], v[54:55], -0.5, v[6:7]
	v_add_f64_e64 v[32:33], v[36:37], -v[32:33]
	v_add_f64_e32 v[36:37], v[56:57], v[36:37]
	v_add_f64_e64 v[54:55], v[12:13], -v[8:9]
	v_add_f64_e32 v[20:21], v[68:69], v[20:21]
	v_add_f64_e32 v[22:23], v[70:71], v[22:23]
	;; [unrolled: 1-line block ×5, first 2 shown]
	v_fma_f64 v[56:57], v[58:59], s[10:11], v[40:41]
	v_fma_f64 v[68:69], v[64:65], s[14:15], v[44:45]
	;; [unrolled: 1-line block ×16, first 2 shown]
	v_add_f64_e32 v[8:9], v[36:37], v[8:9]
	v_add_f64_e32 v[50:51], v[50:51], v[54:55]
	v_add_f64_e32 v[54:55], v[78:79], v[80:81]
	v_add_f64_e32 v[78:79], v[16:17], v[88:89]
	v_add_f64_e32 v[16:17], v[20:21], v[24:25]
	v_add_f64_e32 v[18:19], v[22:23], v[26:27]
	v_add_f64_e32 v[32:33], v[32:33], v[76:77]
	v_add_f64_e32 v[76:77], v[84:85], v[86:87]
	v_add_f64_e32 v[80:81], v[90:91], v[92:93]
	v_fma_f64 v[20:21], v[60:61], s[4:5], v[56:57]
	v_fma_f64 v[36:37], v[66:67], s[6:7], v[68:69]
	v_fma_f64 v[24:25], v[58:59], s[4:5], v[62:63]
	v_fma_f64 v[26:27], v[58:59], s[6:7], v[0:1]
	v_fma_f64 v[22:23], v[60:61], s[6:7], v[40:41]
	v_fma_f64 v[56:57], v[42:43], s[4:5], v[96:97]
	v_fma_f64 v[58:59], v[46:47], s[6:7], v[98:99]
	v_fma_f64 v[40:41], v[64:65], s[6:7], v[70:71]
	v_fma_f64 v[38:39], v[66:67], s[4:5], v[44:45]
	v_fma_f64 v[60:61], v[72:73], s[4:5], v[100:101]
	v_fma_f64 v[44:45], v[64:65], s[4:5], v[2:3]
	v_fma_f64 v[62:63], v[74:75], s[6:7], v[102:103]
	v_fma_f64 v[64:65], v[72:73], s[6:7], v[4:5]
	v_fma_f64 v[66:67], v[74:75], s[4:5], v[6:7]
	v_fma_f64 v[42:43], v[42:43], s[6:7], v[48:49]
	v_fma_f64 v[46:47], v[46:47], s[4:5], v[52:53]
	v_add_f64_e32 v[0:1], v[8:9], v[12:13]
	v_add_f64_e32 v[2:3], v[10:11], v[14:15]
	;; [unrolled: 1-line block ×4, first 2 shown]
	v_fma_f64 v[8:9], v[50:51], s[16:17], v[20:21]
	v_fma_f64 v[10:11], v[54:55], s[16:17], v[36:37]
	;; [unrolled: 1-line block ×16, first 2 shown]
	ds_store_b128 v113, v[0:3]
	ds_store_b128 v113, v[4:7] offset:880
	ds_store_b128 v113, v[8:11] offset:1760
	;; [unrolled: 1-line block ×9, first 2 shown]
	global_wb scope:SCOPE_SE
	s_wait_dscnt 0x0
	s_barrier_signal -1
	s_barrier_wait -1
	global_inv scope:SCOPE_SE
	s_and_b32 exec_lo, exec_lo, vcc_lo
	s_cbranch_execz .LBB0_15
; %bb.14:
	s_clause 0xa
	global_load_b128 v[0:3], v113, s[12:13]
	global_load_b128 v[4:7], v113, s[12:13] offset:800
	global_load_b128 v[8:11], v113, s[12:13] offset:1600
	;; [unrolled: 1-line block ×10, first 2 shown]
	v_mad_co_u64_u32 v[88:89], null, s2, v112, 0
	v_mad_co_u64_u32 v[90:91], null, s0, v114, 0
	ds_load_b128 v[44:47], v113
	ds_load_b128 v[48:51], v113 offset:800
	ds_load_b128 v[52:55], v113 offset:1600
	;; [unrolled: 1-line block ×3, first 2 shown]
	v_mov_b32_e32 v60, v89
	v_mov_b32_e32 v68, v91
	s_delay_alu instid0(VALU_DEP_2)
	v_mad_co_u64_u32 v[76:77], null, s3, v112, v[60:61]
	ds_load_b128 v[60:63], v113 offset:3200
	ds_load_b128 v[64:67], v113 offset:4000
	v_mad_co_u64_u32 v[91:92], null, s1, v114, v[68:69]
	ds_load_b128 v[68:71], v113 offset:4800
	ds_load_b128 v[72:75], v113 offset:5600
	s_mul_u64 s[0:1], s[0:1], 0x320
	s_mov_b32 s2, 0xdca01dca
	v_mov_b32_e32 v89, v76
	ds_load_b128 v[76:79], v113 offset:6400
	ds_load_b128 v[80:83], v113 offset:7200
	;; [unrolled: 1-line block ×3, first 2 shown]
	s_mov_b32 s3, 0x3f5dca01
	v_lshlrev_b64_e32 v[90:91], 4, v[90:91]
	v_lshlrev_b64_e32 v[88:89], 4, v[88:89]
	s_delay_alu instid0(VALU_DEP_1) | instskip(NEXT) | instid1(VALU_DEP_2)
	v_add_co_u32 v88, vcc_lo, s8, v88
	v_add_co_ci_u32_e32 v89, vcc_lo, s9, v89, vcc_lo
	s_delay_alu instid0(VALU_DEP_2) | instskip(SKIP_1) | instid1(VALU_DEP_2)
	v_add_co_u32 v88, vcc_lo, v88, v90
	s_wait_alu 0xfffd
	v_add_co_ci_u32_e32 v89, vcc_lo, v89, v91, vcc_lo
	s_wait_alu 0xfffe
	s_delay_alu instid0(VALU_DEP_2) | instskip(SKIP_1) | instid1(VALU_DEP_2)
	v_add_co_u32 v90, vcc_lo, v88, s0
	s_wait_alu 0xfffd
	v_add_co_ci_u32_e32 v91, vcc_lo, s1, v89, vcc_lo
	s_wait_loadcnt_dscnt 0xa0a
	v_mul_f64_e32 v[92:93], v[46:47], v[2:3]
	v_mul_f64_e32 v[2:3], v[44:45], v[2:3]
	s_wait_loadcnt_dscnt 0x909
	v_mul_f64_e32 v[94:95], v[50:51], v[6:7]
	v_mul_f64_e32 v[6:7], v[48:49], v[6:7]
	;; [unrolled: 3-line block ×11, first 2 shown]
	v_fma_f64 v[44:45], v[44:45], v[0:1], v[92:93]
	v_fma_f64 v[2:3], v[0:1], v[46:47], -v[2:3]
	v_fma_f64 v[46:47], v[48:49], v[4:5], v[94:95]
	v_fma_f64 v[6:7], v[4:5], v[50:51], -v[6:7]
	v_fma_f64 v[48:49], v[52:53], v[8:9], v[96:97]
	v_fma_f64 v[10:11], v[8:9], v[54:55], -v[10:11]
	v_fma_f64 v[50:51], v[56:57], v[12:13], v[98:99]
	v_fma_f64 v[14:15], v[12:13], v[58:59], -v[14:15]
	v_fma_f64 v[52:53], v[60:61], v[16:17], v[100:101]
	v_fma_f64 v[18:19], v[16:17], v[62:63], -v[18:19]
	v_fma_f64 v[54:55], v[64:65], v[20:21], v[102:103]
	v_fma_f64 v[22:23], v[20:21], v[66:67], -v[22:23]
	v_fma_f64 v[56:57], v[68:69], v[24:25], v[104:105]
	v_fma_f64 v[26:27], v[24:25], v[70:71], -v[26:27]
	v_fma_f64 v[58:59], v[72:73], v[28:29], v[106:107]
	v_fma_f64 v[30:31], v[28:29], v[74:75], -v[30:31]
	v_fma_f64 v[60:61], v[76:77], v[32:33], v[108:109]
	v_fma_f64 v[34:35], v[32:33], v[78:79], -v[34:35]
	v_fma_f64 v[62:63], v[80:81], v[36:37], v[110:111]
	v_fma_f64 v[38:39], v[36:37], v[82:83], -v[38:39]
	v_fma_f64 v[64:65], v[84:85], v[40:41], v[112:113]
	v_fma_f64 v[42:43], v[40:41], v[86:87], -v[42:43]
	v_add_co_u32 v66, vcc_lo, v90, s0
	s_wait_alu 0xfffd
	v_add_co_ci_u32_e32 v67, vcc_lo, s1, v91, vcc_lo
	s_delay_alu instid0(VALU_DEP_2) | instskip(SKIP_1) | instid1(VALU_DEP_2)
	v_add_co_u32 v68, vcc_lo, v66, s0
	s_wait_alu 0xfffd
	v_add_co_ci_u32_e32 v69, vcc_lo, s1, v67, vcc_lo
	s_delay_alu instid0(VALU_DEP_2) | instskip(SKIP_1) | instid1(VALU_DEP_2)
	v_add_co_u32 v70, vcc_lo, v68, s0
	s_wait_alu 0xfffd
	v_add_co_ci_u32_e32 v71, vcc_lo, s1, v69, vcc_lo
	v_mul_f64_e32 v[0:1], s[2:3], v[44:45]
	v_mul_f64_e32 v[2:3], s[2:3], v[2:3]
	;; [unrolled: 1-line block ×22, first 2 shown]
	v_add_co_u32 v44, vcc_lo, v70, s0
	s_wait_alu 0xfffd
	v_add_co_ci_u32_e32 v45, vcc_lo, s1, v71, vcc_lo
	s_delay_alu instid0(VALU_DEP_2) | instskip(SKIP_1) | instid1(VALU_DEP_2)
	v_add_co_u32 v46, vcc_lo, v44, s0
	s_wait_alu 0xfffd
	v_add_co_ci_u32_e32 v47, vcc_lo, s1, v45, vcc_lo
	s_delay_alu instid0(VALU_DEP_2) | instskip(SKIP_1) | instid1(VALU_DEP_2)
	v_add_co_u32 v48, vcc_lo, v46, s0
	s_wait_alu 0xfffd
	v_add_co_ci_u32_e32 v49, vcc_lo, s1, v47, vcc_lo
	s_delay_alu instid0(VALU_DEP_2) | instskip(SKIP_1) | instid1(VALU_DEP_2)
	v_add_co_u32 v50, vcc_lo, v48, s0
	s_wait_alu 0xfffd
	v_add_co_ci_u32_e32 v51, vcc_lo, s1, v49, vcc_lo
	s_delay_alu instid0(VALU_DEP_2) | instskip(SKIP_1) | instid1(VALU_DEP_2)
	v_add_co_u32 v52, vcc_lo, v50, s0
	s_wait_alu 0xfffd
	v_add_co_ci_u32_e32 v53, vcc_lo, s1, v51, vcc_lo
	s_delay_alu instid0(VALU_DEP_2) | instskip(SKIP_1) | instid1(VALU_DEP_2)
	v_add_co_u32 v54, vcc_lo, v52, s0
	s_wait_alu 0xfffd
	v_add_co_ci_u32_e32 v55, vcc_lo, s1, v53, vcc_lo
	s_clause 0x4
	global_store_b128 v[88:89], v[0:3], off
	global_store_b128 v[90:91], v[4:7], off
	;; [unrolled: 1-line block ×11, first 2 shown]
.LBB0_15:
	s_nop 0
	s_sendmsg sendmsg(MSG_DEALLOC_VGPRS)
	s_endpgm
	.section	.rodata,"a",@progbits
	.p2align	6, 0x0
	.amdhsa_kernel bluestein_single_back_len550_dim1_dp_op_CI_CI
		.amdhsa_group_segment_fixed_size 8800
		.amdhsa_private_segment_fixed_size 0
		.amdhsa_kernarg_size 104
		.amdhsa_user_sgpr_count 2
		.amdhsa_user_sgpr_dispatch_ptr 0
		.amdhsa_user_sgpr_queue_ptr 0
		.amdhsa_user_sgpr_kernarg_segment_ptr 1
		.amdhsa_user_sgpr_dispatch_id 0
		.amdhsa_user_sgpr_private_segment_size 0
		.amdhsa_wavefront_size32 1
		.amdhsa_uses_dynamic_stack 0
		.amdhsa_enable_private_segment 0
		.amdhsa_system_sgpr_workgroup_id_x 1
		.amdhsa_system_sgpr_workgroup_id_y 0
		.amdhsa_system_sgpr_workgroup_id_z 0
		.amdhsa_system_sgpr_workgroup_info 0
		.amdhsa_system_vgpr_workitem_id 0
		.amdhsa_next_free_vgpr 229
		.amdhsa_next_free_sgpr 40
		.amdhsa_reserve_vcc 1
		.amdhsa_float_round_mode_32 0
		.amdhsa_float_round_mode_16_64 0
		.amdhsa_float_denorm_mode_32 3
		.amdhsa_float_denorm_mode_16_64 3
		.amdhsa_fp16_overflow 0
		.amdhsa_workgroup_processor_mode 1
		.amdhsa_memory_ordered 1
		.amdhsa_forward_progress 0
		.amdhsa_round_robin_scheduling 0
		.amdhsa_exception_fp_ieee_invalid_op 0
		.amdhsa_exception_fp_denorm_src 0
		.amdhsa_exception_fp_ieee_div_zero 0
		.amdhsa_exception_fp_ieee_overflow 0
		.amdhsa_exception_fp_ieee_underflow 0
		.amdhsa_exception_fp_ieee_inexact 0
		.amdhsa_exception_int_div_zero 0
	.end_amdhsa_kernel
	.text
.Lfunc_end0:
	.size	bluestein_single_back_len550_dim1_dp_op_CI_CI, .Lfunc_end0-bluestein_single_back_len550_dim1_dp_op_CI_CI
                                        ; -- End function
	.section	.AMDGPU.csdata,"",@progbits
; Kernel info:
; codeLenInByte = 13344
; NumSgprs: 42
; NumVgprs: 229
; ScratchSize: 0
; MemoryBound: 0
; FloatMode: 240
; IeeeMode: 1
; LDSByteSize: 8800 bytes/workgroup (compile time only)
; SGPRBlocks: 5
; VGPRBlocks: 28
; NumSGPRsForWavesPerEU: 42
; NumVGPRsForWavesPerEU: 229
; Occupancy: 6
; WaveLimiterHint : 1
; COMPUTE_PGM_RSRC2:SCRATCH_EN: 0
; COMPUTE_PGM_RSRC2:USER_SGPR: 2
; COMPUTE_PGM_RSRC2:TRAP_HANDLER: 0
; COMPUTE_PGM_RSRC2:TGID_X_EN: 1
; COMPUTE_PGM_RSRC2:TGID_Y_EN: 0
; COMPUTE_PGM_RSRC2:TGID_Z_EN: 0
; COMPUTE_PGM_RSRC2:TIDIG_COMP_CNT: 0
	.text
	.p2alignl 7, 3214868480
	.fill 96, 4, 3214868480
	.type	__hip_cuid_d56b4aecac68209d,@object ; @__hip_cuid_d56b4aecac68209d
	.section	.bss,"aw",@nobits
	.globl	__hip_cuid_d56b4aecac68209d
__hip_cuid_d56b4aecac68209d:
	.byte	0                               ; 0x0
	.size	__hip_cuid_d56b4aecac68209d, 1

	.ident	"AMD clang version 19.0.0git (https://github.com/RadeonOpenCompute/llvm-project roc-6.4.0 25133 c7fe45cf4b819c5991fe208aaa96edf142730f1d)"
	.section	".note.GNU-stack","",@progbits
	.addrsig
	.addrsig_sym __hip_cuid_d56b4aecac68209d
	.amdgpu_metadata
---
amdhsa.kernels:
  - .args:
      - .actual_access:  read_only
        .address_space:  global
        .offset:         0
        .size:           8
        .value_kind:     global_buffer
      - .actual_access:  read_only
        .address_space:  global
        .offset:         8
        .size:           8
        .value_kind:     global_buffer
      - .actual_access:  read_only
        .address_space:  global
        .offset:         16
        .size:           8
        .value_kind:     global_buffer
      - .actual_access:  read_only
        .address_space:  global
        .offset:         24
        .size:           8
        .value_kind:     global_buffer
      - .actual_access:  read_only
        .address_space:  global
        .offset:         32
        .size:           8
        .value_kind:     global_buffer
      - .offset:         40
        .size:           8
        .value_kind:     by_value
      - .address_space:  global
        .offset:         48
        .size:           8
        .value_kind:     global_buffer
      - .address_space:  global
        .offset:         56
        .size:           8
        .value_kind:     global_buffer
      - .address_space:  global
        .offset:         64
        .size:           8
        .value_kind:     global_buffer
      - .address_space:  global
        .offset:         72
        .size:           8
        .value_kind:     global_buffer
      - .offset:         80
        .size:           4
        .value_kind:     by_value
      - .address_space:  global
        .offset:         88
        .size:           8
        .value_kind:     global_buffer
      - .address_space:  global
        .offset:         96
        .size:           8
        .value_kind:     global_buffer
    .group_segment_fixed_size: 8800
    .kernarg_segment_align: 8
    .kernarg_segment_size: 104
    .language:       OpenCL C
    .language_version:
      - 2
      - 0
    .max_flat_workgroup_size: 55
    .name:           bluestein_single_back_len550_dim1_dp_op_CI_CI
    .private_segment_fixed_size: 0
    .sgpr_count:     42
    .sgpr_spill_count: 0
    .symbol:         bluestein_single_back_len550_dim1_dp_op_CI_CI.kd
    .uniform_work_group_size: 1
    .uses_dynamic_stack: false
    .vgpr_count:     229
    .vgpr_spill_count: 0
    .wavefront_size: 32
    .workgroup_processor_mode: 1
amdhsa.target:   amdgcn-amd-amdhsa--gfx1201
amdhsa.version:
  - 1
  - 2
...

	.end_amdgpu_metadata
